;; amdgpu-corpus repo=ROCm/rocFFT kind=compiled arch=gfx90a opt=O3
	.text
	.amdgcn_target "amdgcn-amd-amdhsa--gfx90a"
	.amdhsa_code_object_version 6
	.protected	bluestein_single_fwd_len3125_dim1_dp_op_CI_CI ; -- Begin function bluestein_single_fwd_len3125_dim1_dp_op_CI_CI
	.globl	bluestein_single_fwd_len3125_dim1_dp_op_CI_CI
	.p2align	8
	.type	bluestein_single_fwd_len3125_dim1_dp_op_CI_CI,@function
bluestein_single_fwd_len3125_dim1_dp_op_CI_CI: ; @bluestein_single_fwd_len3125_dim1_dp_op_CI_CI
; %bb.0:
	s_load_dwordx4 s[12:15], s[4:5], 0x28
	s_mov_b64 s[26:27], s[2:3]
	s_mov_b64 s[24:25], s[0:1]
	v_mul_u32_u24_e32 v1, 0x20d, v0
	s_add_u32 s24, s24, s7
	v_add_u32_sdwa v2, s6, v1 dst_sel:DWORD dst_unused:UNUSED_PAD src0_sel:DWORD src1_sel:WORD_1
	v_mov_b32_e32 v3, 0
	s_addc_u32 s25, s25, 0
	s_waitcnt lgkmcnt(0)
	v_cmp_gt_u64_e32 vcc, s[12:13], v[2:3]
	s_and_saveexec_b64 s[0:1], vcc
	s_cbranch_execz .LBB0_2
; %bb.1:
	s_movk_i32 s17, 0x7d
	s_load_dwordx4 s[8:11], s[4:5], 0x0
	s_load_dwordx4 s[20:23], s[4:5], 0x18
	s_load_dwordx2 s[12:13], s[4:5], 0x38
	v_mul_lo_u16_sdwa v1, v1, s17 dst_sel:DWORD dst_unused:UNUSED_PAD src0_sel:WORD_1 src1_sel:DWORD
	v_sub_u16_e32 v158, v0, v1
	v_lshlrev_b32_e32 v243, 4, v158
	s_waitcnt lgkmcnt(0)
	global_load_dwordx4 v[10:13], v243, s[8:9]
	s_load_dwordx4 s[0:3], s[22:23], 0x0
	s_movk_i32 s16, 0x2000
	v_mov_b32_e32 v242, 0x2710
	v_mov_b32_e32 v22, 0xffff6b90
                                        ; kill: killed $sgpr8_sgpr9
	s_movk_i32 s18, 0xcd
	s_waitcnt lgkmcnt(0)
	v_mad_u64_u32 v[4:5], s[4:5], s2, v2, 0
	s_load_dwordx4 s[4:7], s[20:21], 0x0
	v_mov_b32_e32 v0, v5
	v_mad_u64_u32 v[0:1], s[2:3], s3, v2, v[0:1]
	v_mov_b32_e32 v5, v0
	v_accvgpr_write_b32 a53, v5
	s_waitcnt lgkmcnt(0)
	v_mad_u64_u32 v[0:1], s[2:3], s6, v2, 0
	v_accvgpr_write_b32 a52, v4
	v_mov_b32_e32 v4, v1
	v_mad_u64_u32 v[2:3], s[2:3], s7, v2, v[4:5]
	v_mov_b32_e32 v1, v2
	v_mad_u64_u32 v[2:3], s[2:3], s4, v158, 0
	;; [unrolled: 2-line block ×3, first 2 shown]
	v_lshlrev_b64 v[0:1], 4, v[0:1]
	v_mov_b32_e32 v3, v4
	v_add_co_u32_e32 v4, vcc, s14, v0
	v_mov_b32_e32 v0, s15
	v_addc_co_u32_e32 v5, vcc, v0, v1, vcc
	v_lshlrev_b64 v[0:1], 4, v[2:3]
	v_add_co_u32_e32 v8, vcc, v4, v0
	v_addc_co_u32_e32 v9, vcc, v5, v1, vcc
	global_load_dwordx4 v[0:3], v[8:9], off
	v_add_co_u32_e32 v162, vcc, s8, v243
	v_mov_b32_e32 v4, s9
	v_addc_co_u32_e32 v161, vcc, 0, v4, vcc
	v_mad_u64_u32 v[8:9], s[2:3], s4, v242, v[8:9]
	s_mul_i32 s2, s5, 0x2710
	v_add_u32_e32 v9, s2, v9
	s_movk_i32 s3, 0x4000
	s_mov_b32 s15, 0xbfee6f0e
	v_mov_b32_e32 v172, v158
	v_mov_b32_e32 v160, s11
	s_waitcnt vmcnt(1)
	buffer_store_dword v10, off, s[24:27], 0 offset:40 ; 4-byte Folded Spill
	s_nop 0
	buffer_store_dword v11, off, s[24:27], 0 offset:44 ; 4-byte Folded Spill
	buffer_store_dword v12, off, s[24:27], 0 offset:48 ; 4-byte Folded Spill
	;; [unrolled: 1-line block ×3, first 2 shown]
	s_waitcnt vmcnt(4)
	v_mul_f64 v[4:5], v[2:3], v[12:13]
	v_fmac_f64_e32 v[4:5], v[0:1], v[10:11]
	v_mul_f64 v[0:1], v[0:1], v[12:13]
	v_add_co_u32_e32 v12, vcc, s16, v162
	v_addc_co_u32_e32 v13, vcc, 0, v161, vcc
	global_load_dwordx4 v[14:17], v[12:13], off offset:1808
	v_fma_f64 v[6:7], v[2:3], v[10:11], -v[0:1]
	global_load_dwordx4 v[0:3], v[8:9], off
	ds_write_b128 v243, v[4:7]
                                        ; kill: killed $vgpr12 killed $vgpr13
	s_waitcnt vmcnt(1)
	buffer_store_dword v14, off, s[24:27], 0 offset:96 ; 4-byte Folded Spill
	s_nop 0
	buffer_store_dword v15, off, s[24:27], 0 offset:100 ; 4-byte Folded Spill
	buffer_store_dword v16, off, s[24:27], 0 offset:104 ; 4-byte Folded Spill
	;; [unrolled: 1-line block ×3, first 2 shown]
	s_waitcnt vmcnt(4)
	v_mul_f64 v[4:5], v[2:3], v[16:17]
	v_fmac_f64_e32 v[4:5], v[0:1], v[14:15]
	v_mul_f64 v[0:1], v[0:1], v[16:17]
	v_fma_f64 v[6:7], v[2:3], v[14:15], -v[0:1]
	ds_write_b128 v243, v[4:7] offset:10000
	v_add_co_u32_e32 v6, vcc, s3, v162
	v_addc_co_u32_e32 v7, vcc, 0, v161, vcc
	global_load_dwordx4 v[14:17], v[6:7], off offset:3616
	v_mad_u64_u32 v[4:5], s[6:7], s4, v242, v[8:9]
	v_add_u32_e32 v5, s2, v5
	global_load_dwordx4 v[0:3], v[4:5], off
	s_movk_i32 s3, 0x7000
	v_mad_u64_u32 v[4:5], s[6:7], s4, v242, v[4:5]
	v_add_u32_e32 v5, s2, v5
                                        ; kill: killed $vgpr6 killed $vgpr7
	s_waitcnt vmcnt(1)
	buffer_store_dword v14, off, s[24:27], 0 offset:128 ; 4-byte Folded Spill
	s_nop 0
	buffer_store_dword v15, off, s[24:27], 0 offset:132 ; 4-byte Folded Spill
	buffer_store_dword v16, off, s[24:27], 0 offset:136 ; 4-byte Folded Spill
	;; [unrolled: 1-line block ×3, first 2 shown]
	s_waitcnt vmcnt(4)
	v_mul_f64 v[8:9], v[2:3], v[16:17]
	v_fmac_f64_e32 v[8:9], v[0:1], v[14:15]
	v_mul_f64 v[0:1], v[0:1], v[16:17]
	v_fma_f64 v[10:11], v[2:3], v[14:15], -v[0:1]
	v_add_co_u32_e32 v14, vcc, s3, v162
	v_addc_co_u32_e32 v15, vcc, 0, v161, vcc
	global_load_dwordx4 v[16:19], v[14:15], off offset:1328
	global_load_dwordx4 v[0:3], v[4:5], off
	ds_write_b128 v243, v[8:11] offset:20000
	s_mov_b32 s3, 0x9000
                                        ; kill: killed $vgpr14 killed $vgpr15
	s_waitcnt vmcnt(1)
	buffer_store_dword v16, off, s[24:27], 0 offset:164 ; 4-byte Folded Spill
	s_nop 0
	buffer_store_dword v17, off, s[24:27], 0 offset:168 ; 4-byte Folded Spill
	buffer_store_dword v18, off, s[24:27], 0 offset:172 ; 4-byte Folded Spill
	buffer_store_dword v19, off, s[24:27], 0 offset:176 ; 4-byte Folded Spill
	s_waitcnt vmcnt(4)
	v_mul_f64 v[8:9], v[2:3], v[18:19]
	v_fmac_f64_e32 v[8:9], v[0:1], v[16:17]
	v_mul_f64 v[0:1], v[0:1], v[18:19]
	v_fma_f64 v[10:11], v[2:3], v[16:17], -v[0:1]
	v_mad_u64_u32 v[16:17], s[6:7], s4, v242, v[4:5]
	v_add_co_u32_e32 v4, vcc, s3, v162
	v_addc_co_u32_e32 v5, vcc, 0, v161, vcc
	global_load_dwordx4 v[18:21], v[4:5], off offset:3136
	v_add_u32_e32 v17, s2, v17
	global_load_dwordx4 v[0:3], v[16:17], off
	ds_write_b128 v243, v[8:11] offset:30000
	s_mul_i32 s3, s5, 0xffff6b90
	s_sub_i32 s3, s3, s4
	v_add_co_u32_e32 v186, vcc, s17, v158
	s_movk_i32 s5, 0x5000
                                        ; kill: killed $vgpr4 killed $vgpr5
	s_waitcnt vmcnt(1)
	buffer_store_dword v18, off, s[24:27], 0 offset:212 ; 4-byte Folded Spill
	s_nop 0
	buffer_store_dword v19, off, s[24:27], 0 offset:216 ; 4-byte Folded Spill
	buffer_store_dword v20, off, s[24:27], 0 offset:220 ; 4-byte Folded Spill
	;; [unrolled: 1-line block ×3, first 2 shown]
	s_waitcnt vmcnt(4)
	v_mul_f64 v[8:9], v[2:3], v[20:21]
	v_fmac_f64_e32 v[8:9], v[0:1], v[18:19]
	v_mul_f64 v[0:1], v[0:1], v[20:21]
	v_fma_f64 v[10:11], v[2:3], v[18:19], -v[0:1]
	v_mov_b32_e32 v0, 0xffff6b90
	v_mad_u64_u32 v[16:17], s[6:7], s4, v0, v[16:17]
	ds_write_b128 v243, v[8:11] offset:40000
	v_add_u32_e32 v17, s3, v17
	global_load_dwordx4 v[0:3], v[16:17], off
	global_load_dwordx4 v[18:21], v243, s[8:9] offset:2000
	v_mad_u64_u32 v[16:17], s[6:7], s4, v242, v[16:17]
	v_add_u32_e32 v17, s2, v17
	s_waitcnt vmcnt(0)
	buffer_store_dword v18, off, s[24:27], 0 offset:24 ; 4-byte Folded Spill
	s_nop 0
	buffer_store_dword v19, off, s[24:27], 0 offset:28 ; 4-byte Folded Spill
	buffer_store_dword v20, off, s[24:27], 0 offset:32 ; 4-byte Folded Spill
	;; [unrolled: 1-line block ×3, first 2 shown]
	v_mul_f64 v[8:9], v[2:3], v[20:21]
	v_fmac_f64_e32 v[8:9], v[0:1], v[18:19]
	v_mul_f64 v[0:1], v[0:1], v[20:21]
	v_fma_f64 v[10:11], v[2:3], v[18:19], -v[0:1]
	ds_write_b128 v243, v[8:11] offset:2000
	global_load_dwordx4 v[0:3], v[16:17], off
	global_load_dwordx4 v[18:21], v[12:13], off offset:3808
	v_mad_u64_u32 v[12:13], s[6:7], s4, v242, v[16:17]
	v_add_co_u32_e32 v16, vcc, s5, v162
	v_addc_co_u32_e32 v17, vcc, 0, v161, vcc
	v_add_u32_e32 v13, s2, v13
	s_mov_b32 s5, 0xa000
                                        ; kill: killed $vgpr16 killed $vgpr17
	s_waitcnt vmcnt(0)
	buffer_store_dword v18, off, s[24:27], 0 offset:80 ; 4-byte Folded Spill
	s_nop 0
	buffer_store_dword v19, off, s[24:27], 0 offset:84 ; 4-byte Folded Spill
	buffer_store_dword v20, off, s[24:27], 0 offset:88 ; 4-byte Folded Spill
	;; [unrolled: 1-line block ×3, first 2 shown]
	v_mul_f64 v[8:9], v[2:3], v[20:21]
	v_fmac_f64_e32 v[8:9], v[0:1], v[18:19]
	v_mul_f64 v[0:1], v[0:1], v[20:21]
	v_fma_f64 v[10:11], v[2:3], v[18:19], -v[0:1]
	global_load_dwordx4 v[18:21], v[16:17], off offset:1520
	global_load_dwordx4 v[0:3], v[12:13], off
	ds_write_b128 v243, v[8:11] offset:12000
	v_mad_u64_u32 v[12:13], s[6:7], s4, v242, v[12:13]
	v_add_u32_e32 v13, s2, v13
	s_waitcnt vmcnt(1)
	buffer_store_dword v18, off, s[24:27], 0 offset:112 ; 4-byte Folded Spill
	s_nop 0
	buffer_store_dword v19, off, s[24:27], 0 offset:116 ; 4-byte Folded Spill
	buffer_store_dword v20, off, s[24:27], 0 offset:120 ; 4-byte Folded Spill
	;; [unrolled: 1-line block ×3, first 2 shown]
	s_waitcnt vmcnt(4)
	v_mul_f64 v[8:9], v[2:3], v[20:21]
	v_fmac_f64_e32 v[8:9], v[0:1], v[18:19]
	v_mul_f64 v[0:1], v[0:1], v[20:21]
	v_fma_f64 v[10:11], v[2:3], v[18:19], -v[0:1]
	ds_write_b128 v243, v[8:11] offset:22000
	global_load_dwordx4 v[0:3], v[12:13], off
	global_load_dwordx4 v[18:21], v[14:15], off offset:3328
	v_add_co_u32_e32 v14, vcc, s5, v162
	v_addc_co_u32_e32 v15, vcc, 0, v161, vcc
	v_mad_u64_u32 v[12:13], s[6:7], s4, v242, v[12:13]
	v_add_u32_e32 v13, s2, v13
	s_movk_i32 s5, 0xfa
	v_add_co_u32_e32 v187, vcc, s5, v158
	s_movk_i32 s5, 0x3000
	s_waitcnt vmcnt(0)
	buffer_store_dword v18, off, s[24:27], 0 offset:148 ; 4-byte Folded Spill
	s_nop 0
	buffer_store_dword v19, off, s[24:27], 0 offset:152 ; 4-byte Folded Spill
	buffer_store_dword v20, off, s[24:27], 0 offset:156 ; 4-byte Folded Spill
	;; [unrolled: 1-line block ×3, first 2 shown]
	v_mul_f64 v[8:9], v[2:3], v[20:21]
	v_fmac_f64_e32 v[8:9], v[0:1], v[18:19]
	v_mul_f64 v[0:1], v[0:1], v[20:21]
	v_fma_f64 v[10:11], v[2:3], v[18:19], -v[0:1]
	global_load_dwordx4 v[18:21], v[14:15], off offset:1040
	global_load_dwordx4 v[0:3], v[12:13], off
	ds_write_b128 v243, v[8:11] offset:32000
	v_mad_u64_u32 v[12:13], s[6:7], s4, v22, v[12:13]
	v_add_u32_e32 v13, s3, v13
	s_waitcnt vmcnt(1)
	buffer_store_dword v18, off, s[24:27], 0 offset:180 ; 4-byte Folded Spill
	s_nop 0
	buffer_store_dword v19, off, s[24:27], 0 offset:184 ; 4-byte Folded Spill
	buffer_store_dword v20, off, s[24:27], 0 offset:188 ; 4-byte Folded Spill
	;; [unrolled: 1-line block ×3, first 2 shown]
	s_waitcnt vmcnt(4)
	v_mul_f64 v[8:9], v[2:3], v[20:21]
	v_fmac_f64_e32 v[8:9], v[0:1], v[18:19]
	v_mul_f64 v[0:1], v[0:1], v[20:21]
	v_fma_f64 v[10:11], v[2:3], v[18:19], -v[0:1]
	ds_write_b128 v243, v[8:11] offset:42000
	global_load_dwordx4 v[0:3], v[12:13], off
	global_load_dwordx4 v[18:21], v243, s[8:9] offset:4000
	v_mad_u64_u32 v[12:13], s[6:7], s4, v242, v[12:13]
	v_add_u32_e32 v13, s2, v13
	s_mov_b32 s9, 0xbfe2cf23
	s_waitcnt vmcnt(0)
	v_mul_f64 v[8:9], v[2:3], v[20:21]
	v_fmac_f64_e32 v[8:9], v[0:1], v[18:19]
	v_mul_f64 v[0:1], v[0:1], v[20:21]
	v_accvgpr_write_b32 a57, v21
	v_fma_f64 v[10:11], v[2:3], v[18:19], -v[0:1]
	v_accvgpr_write_b32 a56, v20
	v_accvgpr_write_b32 a55, v19
	;; [unrolled: 1-line block ×3, first 2 shown]
	v_add_co_u32_e32 v18, vcc, s5, v162
	v_addc_co_u32_e32 v19, vcc, 0, v161, vcc
	global_load_dwordx4 v[0:3], v[12:13], off
	global_load_dwordx4 v[24:27], v[18:19], off offset:1712
	ds_write_b128 v243, v[8:11] offset:4000
	v_mad_u64_u32 v[12:13], s[6:7], s4, v242, v[12:13]
	v_add_u32_e32 v13, s2, v13
	s_mov_b32 s5, 0x8000
	s_waitcnt vmcnt(0)
	v_mul_f64 v[8:9], v[2:3], v[26:27]
	v_fmac_f64_e32 v[8:9], v[0:1], v[24:25]
	v_mul_f64 v[0:1], v[0:1], v[26:27]
	v_fma_f64 v[10:11], v[2:3], v[24:25], -v[0:1]
	v_accvgpr_write_b32 a69, v27
	ds_write_b128 v243, v[8:11] offset:14000
	v_accvgpr_write_b32 a68, v26
	v_accvgpr_write_b32 a67, v25
	;; [unrolled: 1-line block ×3, first 2 shown]
	global_load_dwordx4 v[0:3], v[12:13], off
	global_load_dwordx4 v[24:27], v[16:17], off offset:3520
	v_mad_u64_u32 v[12:13], s[6:7], s4, v242, v[12:13]
	v_add_co_u32_e32 v16, vcc, s5, v162
	v_add_u32_e32 v13, s2, v13
	v_addc_co_u32_e32 v17, vcc, 0, v161, vcc
	s_movk_i32 s5, 0x177
	v_add_co_u32_e32 v188, vcc, s5, v158
	s_movk_i32 s5, 0x1000
	v_add_co_u32_e32 v20, vcc, s5, v162
	v_addc_co_u32_e32 v21, vcc, 0, v161, vcc
	s_movk_i32 s5, 0x6000
                                        ; kill: killed $vgpr20 killed $vgpr21
	s_waitcnt vmcnt(0)
	v_mul_f64 v[8:9], v[2:3], v[26:27]
	v_fmac_f64_e32 v[8:9], v[0:1], v[24:25]
	v_mul_f64 v[0:1], v[0:1], v[26:27]
	v_accvgpr_write_b32 a61, v27
	v_fma_f64 v[10:11], v[2:3], v[24:25], -v[0:1]
	v_accvgpr_write_b32 a60, v26
	v_accvgpr_write_b32 a59, v25
	;; [unrolled: 1-line block ×3, first 2 shown]
	global_load_dwordx4 v[0:3], v[12:13], off
	global_load_dwordx4 v[24:27], v[16:17], off offset:1232
	ds_write_b128 v243, v[8:11] offset:24000
	v_mad_u64_u32 v[12:13], s[6:7], s4, v242, v[12:13]
	v_add_u32_e32 v13, s2, v13
	s_waitcnt vmcnt(0)
	v_mul_f64 v[8:9], v[2:3], v[26:27]
	v_fmac_f64_e32 v[8:9], v[0:1], v[24:25]
	v_mul_f64 v[0:1], v[0:1], v[26:27]
	v_fma_f64 v[10:11], v[2:3], v[24:25], -v[0:1]
	v_accvgpr_write_b32 a73, v27
	ds_write_b128 v243, v[8:11] offset:34000
	v_accvgpr_write_b32 a72, v26
	v_accvgpr_write_b32 a71, v25
	;; [unrolled: 1-line block ×3, first 2 shown]
	global_load_dwordx4 v[0:3], v[12:13], off
	global_load_dwordx4 v[24:27], v[14:15], off offset:3040
	v_mad_u64_u32 v[12:13], s[6:7], s4, v22, v[12:13]
	v_add_u32_e32 v13, s3, v13
	s_waitcnt vmcnt(0)
	v_mul_f64 v[8:9], v[2:3], v[26:27]
	v_fmac_f64_e32 v[8:9], v[0:1], v[24:25]
	v_mul_f64 v[0:1], v[0:1], v[26:27]
	v_accvgpr_write_b32 a65, v27
	v_fma_f64 v[10:11], v[2:3], v[24:25], -v[0:1]
	v_accvgpr_write_b32 a64, v26
	v_accvgpr_write_b32 a63, v25
	;; [unrolled: 1-line block ×3, first 2 shown]
	global_load_dwordx4 v[0:3], v[12:13], off
	global_load_dwordx4 v[24:27], v[20:21], off offset:1904
	ds_write_b128 v243, v[8:11] offset:44000
	v_mad_u64_u32 v[12:13], s[6:7], s4, v242, v[12:13]
	v_add_u32_e32 v13, s2, v13
	s_waitcnt vmcnt(0)
	v_mul_f64 v[8:9], v[2:3], v[26:27]
	v_fmac_f64_e32 v[8:9], v[0:1], v[24:25]
	v_mul_f64 v[0:1], v[0:1], v[26:27]
	v_fma_f64 v[10:11], v[2:3], v[24:25], -v[0:1]
	v_accvgpr_write_b32 a85, v27
	ds_write_b128 v243, v[8:11] offset:6000
	v_accvgpr_write_b32 a84, v26
	v_accvgpr_write_b32 a83, v25
	v_accvgpr_write_b32 a82, v24
	global_load_dwordx4 v[0:3], v[12:13], off
	global_load_dwordx4 v[24:27], v[18:19], off offset:3712
	s_waitcnt vmcnt(0)
	v_mul_f64 v[8:9], v[2:3], v[26:27]
	v_fmac_f64_e32 v[8:9], v[0:1], v[24:25]
	v_mul_f64 v[0:1], v[0:1], v[26:27]
	v_fma_f64 v[10:11], v[2:3], v[24:25], -v[0:1]
	ds_write_b128 v243, v[8:11] offset:16000
	v_mad_u64_u32 v[8:9], s[6:7], s4, v242, v[12:13]
	v_add_co_u32_e32 v10, vcc, s5, v162
	v_accvgpr_write_b32 a77, v27
	v_add_u32_e32 v9, s2, v9
	v_addc_co_u32_e32 v11, vcc, 0, v161, vcc
	v_accvgpr_write_b32 a76, v26
	v_accvgpr_write_b32 a75, v25
	;; [unrolled: 1-line block ×3, first 2 shown]
	global_load_dwordx4 v[0:3], v[8:9], off
	global_load_dwordx4 v[24:27], v[10:11], off offset:1424
	v_mad_u64_u32 v[8:9], s[6:7], s4, v242, v[8:9]
	v_add_u32_e32 v9, s2, v9
	s_mov_b32 s5, 0xb000
                                        ; kill: killed $vgpr10 killed $vgpr11
	s_waitcnt vmcnt(0)
	v_mul_f64 v[12:13], v[2:3], v[26:27]
	v_fmac_f64_e32 v[12:13], v[0:1], v[24:25]
	v_mul_f64 v[0:1], v[0:1], v[26:27]
	v_fma_f64 v[14:15], v[2:3], v[24:25], -v[0:1]
	v_accvgpr_write_b32 a89, v27
	ds_write_b128 v243, v[12:15] offset:26000
	v_accvgpr_write_b32 a88, v26
	v_accvgpr_write_b32 a87, v25
	;; [unrolled: 1-line block ×3, first 2 shown]
	global_load_dwordx4 v[0:3], v[8:9], off
	global_load_dwordx4 v[24:27], v[16:17], off offset:3232
	v_mad_u64_u32 v[16:17], s[6:7], s4, v242, v[8:9]
	v_add_co_u32_e32 v8, vcc, s5, v162
	v_add_u32_e32 v17, s2, v17
	v_addc_co_u32_e32 v9, vcc, 0, v161, vcc
	s_movk_i32 s5, 0x1f4
	v_add_co_u32_e32 v163, vcc, s5, v158
                                        ; kill: killed $vgpr8 killed $vgpr9
	s_waitcnt vmcnt(0)
	v_mul_f64 v[12:13], v[2:3], v[26:27]
	v_fmac_f64_e32 v[12:13], v[0:1], v[24:25]
	v_mul_f64 v[0:1], v[0:1], v[26:27]
	v_accvgpr_write_b32 a81, v27
	v_fma_f64 v[14:15], v[2:3], v[24:25], -v[0:1]
	v_accvgpr_write_b32 a80, v26
	v_accvgpr_write_b32 a79, v25
	;; [unrolled: 1-line block ×3, first 2 shown]
	global_load_dwordx4 v[0:3], v[16:17], off
	global_load_dwordx4 v[24:27], v[8:9], off offset:944
	ds_write_b128 v243, v[12:15] offset:36000
	v_mad_u64_u32 v[16:17], s[6:7], s4, v22, v[16:17]
	v_add_u32_e32 v17, s3, v17
	s_waitcnt vmcnt(0)
	v_mul_f64 v[12:13], v[2:3], v[26:27]
	v_fmac_f64_e32 v[12:13], v[0:1], v[24:25]
	v_mul_f64 v[0:1], v[0:1], v[26:27]
	v_fma_f64 v[14:15], v[2:3], v[24:25], -v[0:1]
	v_accvgpr_write_b32 a93, v27
	ds_write_b128 v243, v[12:15] offset:46000
	v_accvgpr_write_b32 a92, v26
	v_accvgpr_write_b32 a91, v25
	;; [unrolled: 1-line block ×3, first 2 shown]
	global_load_dwordx4 v[0:3], v[16:17], off
	global_load_dwordx4 v[22:25], v[20:21], off offset:3904
	s_waitcnt vmcnt(0)
	buffer_store_dword v22, off, s[24:27], 0 offset:8 ; 4-byte Folded Spill
	s_nop 0
	buffer_store_dword v23, off, s[24:27], 0 offset:12 ; 4-byte Folded Spill
	buffer_store_dword v24, off, s[24:27], 0 offset:16 ; 4-byte Folded Spill
	buffer_store_dword v25, off, s[24:27], 0 offset:20 ; 4-byte Folded Spill
	v_mul_f64 v[12:13], v[2:3], v[24:25]
	v_fmac_f64_e32 v[12:13], v[0:1], v[22:23]
	v_mul_f64 v[0:1], v[0:1], v[24:25]
	v_fma_f64 v[14:15], v[2:3], v[22:23], -v[0:1]
	ds_write_b128 v243, v[12:15] offset:8000
	v_mad_u64_u32 v[12:13], s[6:7], s4, v242, v[16:17]
	v_add_u32_e32 v13, s2, v13
	global_load_dwordx4 v[0:3], v[12:13], off
	global_load_dwordx4 v[18:21], v[6:7], off offset:1616
	v_mad_u64_u32 v[6:7], s[6:7], s4, v242, v[12:13]
	v_add_u32_e32 v7, s2, v7
	s_waitcnt vmcnt(0)
	v_mul_f64 v[14:15], v[2:3], v[20:21]
	v_fmac_f64_e32 v[14:15], v[0:1], v[18:19]
	v_mul_f64 v[0:1], v[0:1], v[20:21]
	v_fma_f64 v[16:17], v[2:3], v[18:19], -v[0:1]
	ds_write_b128 v243, v[14:17] offset:18000
	global_load_dwordx4 v[0:3], v[6:7], off
	global_load_dwordx4 v[12:15], v[10:11], off offset:3424
	s_waitcnt vmcnt(0)
	buffer_store_dword v12, off, s[24:27], 0 offset:196 ; 4-byte Folded Spill
	s_nop 0
	buffer_store_dword v13, off, s[24:27], 0 offset:200 ; 4-byte Folded Spill
	buffer_store_dword v14, off, s[24:27], 0 offset:204 ; 4-byte Folded Spill
	;; [unrolled: 1-line block ×3, first 2 shown]
	v_accvgpr_write_b32 a97, v21
	v_accvgpr_write_b32 a96, v20
	;; [unrolled: 1-line block ×4, first 2 shown]
	v_mul_f64 v[10:11], v[2:3], v[14:15]
	v_fmac_f64_e32 v[10:11], v[0:1], v[12:13]
	v_mul_f64 v[0:1], v[0:1], v[14:15]
	v_fma_f64 v[12:13], v[2:3], v[12:13], -v[0:1]
	ds_write_b128 v243, v[10:13] offset:28000
	v_mad_u64_u32 v[10:11], s[6:7], s4, v242, v[6:7]
	v_add_u32_e32 v11, s2, v11
	global_load_dwordx4 v[0:3], v[10:11], off
	global_load_dwordx4 v[12:15], v[4:5], off offset:1136
	s_waitcnt vmcnt(0)
	buffer_store_dword v12, off, s[24:27], 0 offset:228 ; 4-byte Folded Spill
	s_nop 0
	buffer_store_dword v13, off, s[24:27], 0 offset:232 ; 4-byte Folded Spill
	buffer_store_dword v14, off, s[24:27], 0 offset:236 ; 4-byte Folded Spill
	;; [unrolled: 1-line block ×3, first 2 shown]
	s_mov_b32 s6, 0x4755a5e
	s_mov_b32 s7, 0x3fe2cf23
	;; [unrolled: 1-line block ×3, first 2 shown]
	v_mul_f64 v[4:5], v[2:3], v[14:15]
	v_fmac_f64_e32 v[4:5], v[0:1], v[12:13]
	v_mul_f64 v[0:1], v[0:1], v[14:15]
	v_fma_f64 v[6:7], v[2:3], v[12:13], -v[0:1]
	ds_write_b128 v243, v[4:7] offset:38000
	v_mad_u64_u32 v[4:5], s[4:5], s4, v242, v[10:11]
	v_add_u32_e32 v5, s2, v5
	global_load_dwordx4 v[0:3], v[4:5], off
	global_load_dwordx4 v[10:13], v[8:9], off offset:2944
                                        ; kill: killed $vgpr4 killed $vgpr5
	s_mov_b32 s2, 0x134454ff
	s_mov_b32 s3, 0x3fee6f0e
	;; [unrolled: 1-line block ×5, first 2 shown]
	s_waitcnt vmcnt(0)
	v_mul_f64 v[4:5], v[2:3], v[12:13]
	v_fmac_f64_e32 v[4:5], v[0:1], v[10:11]
	v_mul_f64 v[0:1], v[0:1], v[12:13]
	v_fma_f64 v[6:7], v[2:3], v[10:11], -v[0:1]
	v_accvgpr_write_b32 a101, v13
	v_accvgpr_write_b32 a100, v12
	;; [unrolled: 1-line block ×4, first 2 shown]
	ds_write_b128 v243, v[4:7] offset:48000
	s_waitcnt lgkmcnt(0)
	s_barrier
	ds_read_b128 v[0:3], v243
	ds_read_b128 v[68:71], v243 offset:10000
	ds_read_b128 v[84:87], v243 offset:20000
	;; [unrolled: 1-line block ×24, first 2 shown]
	s_waitcnt lgkmcnt(14)
	v_add_f64 v[24:25], v[0:1], v[68:69]
	v_add_f64 v[24:25], v[24:25], v[84:85]
	;; [unrolled: 1-line block ×5, first 2 shown]
	v_fma_f64 v[24:25], -0.5, v[24:25], v[0:1]
	v_add_f64 v[26:27], v[70:71], -v[116:117]
	v_fma_f64 v[40:41], s[2:3], v[26:27], v[24:25]
	v_add_f64 v[34:35], v[86:87], -v[90:91]
	v_add_f64 v[42:43], v[68:69], -v[84:85]
	;; [unrolled: 1-line block ×3, first 2 shown]
	v_fmac_f64_e32 v[24:25], s[14:15], v[26:27]
	v_fmac_f64_e32 v[40:41], s[6:7], v[34:35]
	v_add_f64 v[42:43], v[42:43], v[52:53]
	v_fmac_f64_e32 v[24:25], s[8:9], v[34:35]
	v_fmac_f64_e32 v[40:41], s[4:5], v[42:43]
	;; [unrolled: 1-line block ×3, first 2 shown]
	v_add_f64 v[42:43], v[68:69], v[114:115]
	v_fmac_f64_e32 v[0:1], -0.5, v[42:43]
	v_fma_f64 v[52:53], s[14:15], v[34:35], v[0:1]
	v_fmac_f64_e32 v[0:1], s[2:3], v[34:35]
	v_fmac_f64_e32 v[52:53], s[6:7], v[26:27]
	;; [unrolled: 1-line block ×3, first 2 shown]
	v_add_f64 v[26:27], v[2:3], v[70:71]
	v_add_f64 v[26:27], v[26:27], v[86:87]
	;; [unrolled: 1-line block ×3, first 2 shown]
	v_add_f64 v[42:43], v[84:85], -v[68:69]
	v_add_f64 v[54:55], v[88:89], -v[114:115]
	v_add_f64 v[34:35], v[26:27], v[116:117]
	v_add_f64 v[26:27], v[86:87], v[90:91]
	;; [unrolled: 1-line block ×3, first 2 shown]
	v_fma_f64 v[26:27], -0.5, v[26:27], v[2:3]
	v_add_f64 v[68:69], v[68:69], -v[114:115]
	v_fmac_f64_e32 v[52:53], s[4:5], v[42:43]
	v_fmac_f64_e32 v[0:1], s[4:5], v[42:43]
	v_fma_f64 v[42:43], s[14:15], v[68:69], v[26:27]
	v_add_f64 v[84:85], v[84:85], -v[88:89]
	v_add_f64 v[54:55], v[70:71], -v[86:87]
	;; [unrolled: 1-line block ×3, first 2 shown]
	v_fmac_f64_e32 v[26:27], s[2:3], v[68:69]
	v_fmac_f64_e32 v[42:43], s[8:9], v[84:85]
	v_add_f64 v[54:55], v[54:55], v[88:89]
	v_fmac_f64_e32 v[26:27], s[6:7], v[84:85]
	v_fmac_f64_e32 v[42:43], s[4:5], v[54:55]
	v_fmac_f64_e32 v[26:27], s[4:5], v[54:55]
	v_add_f64 v[54:55], v[70:71], v[116:117]
	v_fmac_f64_e32 v[2:3], -0.5, v[54:55]
	v_fma_f64 v[54:55], s[2:3], v[84:85], v[2:3]
	v_fmac_f64_e32 v[2:3], s[14:15], v[84:85]
	v_fmac_f64_e32 v[54:55], s[8:9], v[68:69]
	;; [unrolled: 1-line block ×3, first 2 shown]
	v_add_f64 v[68:69], v[4:5], v[98:99]
	v_add_f64 v[68:69], v[68:69], v[102:103]
	v_add_f64 v[70:71], v[86:87], -v[70:71]
	v_add_f64 v[86:87], v[90:91], -v[116:117]
	v_add_f64 v[68:69], v[68:69], v[106:107]
	v_add_f64 v[70:71], v[70:71], v[86:87]
	;; [unrolled: 1-line block ×4, first 2 shown]
	v_fmac_f64_e32 v[54:55], s[4:5], v[70:71]
	v_fmac_f64_e32 v[2:3], s[4:5], v[70:71]
	v_fma_f64 v[68:69], -0.5, v[68:69], v[4:5]
	v_add_f64 v[70:71], v[100:101], -v[112:113]
	v_fma_f64 v[88:89], s[2:3], v[70:71], v[68:69]
	v_add_f64 v[86:87], v[104:105], -v[108:109]
	v_add_f64 v[90:91], v[98:99], -v[102:103]
	;; [unrolled: 1-line block ×3, first 2 shown]
	v_fmac_f64_e32 v[68:69], s[14:15], v[70:71]
	v_fmac_f64_e32 v[88:89], s[6:7], v[86:87]
	v_add_f64 v[90:91], v[90:91], v[96:97]
	v_fmac_f64_e32 v[68:69], s[8:9], v[86:87]
	v_fmac_f64_e32 v[88:89], s[4:5], v[90:91]
	;; [unrolled: 1-line block ×3, first 2 shown]
	v_add_f64 v[90:91], v[98:99], v[110:111]
	v_fmac_f64_e32 v[4:5], -0.5, v[90:91]
	v_fma_f64 v[96:97], s[14:15], v[86:87], v[4:5]
	v_fmac_f64_e32 v[4:5], s[2:3], v[86:87]
	v_fmac_f64_e32 v[96:97], s[6:7], v[70:71]
	;; [unrolled: 1-line block ×3, first 2 shown]
	v_add_f64 v[70:71], v[6:7], v[100:101]
	v_add_f64 v[70:71], v[70:71], v[104:105]
	;; [unrolled: 1-line block ×3, first 2 shown]
	v_add_f64 v[90:91], v[102:103], -v[98:99]
	v_add_f64 v[114:115], v[106:107], -v[110:111]
	v_add_f64 v[86:87], v[70:71], v[112:113]
	v_add_f64 v[70:71], v[104:105], v[108:109]
	;; [unrolled: 1-line block ×3, first 2 shown]
	v_fma_f64 v[70:71], -0.5, v[70:71], v[6:7]
	v_add_f64 v[110:111], v[98:99], -v[110:111]
	v_fmac_f64_e32 v[96:97], s[4:5], v[90:91]
	v_fmac_f64_e32 v[4:5], s[4:5], v[90:91]
	v_fma_f64 v[90:91], s[14:15], v[110:111], v[70:71]
	v_add_f64 v[102:103], v[102:103], -v[106:107]
	v_add_f64 v[98:99], v[100:101], -v[104:105]
	;; [unrolled: 1-line block ×3, first 2 shown]
	v_fmac_f64_e32 v[70:71], s[2:3], v[110:111]
	v_fmac_f64_e32 v[90:91], s[8:9], v[102:103]
	v_add_f64 v[98:99], v[98:99], v[106:107]
	v_fmac_f64_e32 v[70:71], s[6:7], v[102:103]
	v_fmac_f64_e32 v[90:91], s[4:5], v[98:99]
	;; [unrolled: 1-line block ×3, first 2 shown]
	v_add_f64 v[98:99], v[100:101], v[112:113]
	v_fmac_f64_e32 v[6:7], -0.5, v[98:99]
	v_fma_f64 v[98:99], s[2:3], v[102:103], v[6:7]
	v_add_f64 v[100:101], v[104:105], -v[100:101]
	v_add_f64 v[104:105], v[108:109], -v[112:113]
	v_fmac_f64_e32 v[6:7], s[14:15], v[102:103]
	v_fmac_f64_e32 v[98:99], s[8:9], v[110:111]
	v_add_f64 v[100:101], v[100:101], v[104:105]
	v_fmac_f64_e32 v[6:7], s[6:7], v[110:111]
	v_fmac_f64_e32 v[98:99], s[4:5], v[100:101]
	;; [unrolled: 1-line block ×3, first 2 shown]
	s_waitcnt lgkmcnt(13)
	v_add_f64 v[100:101], v[8:9], v[72:73]
	s_waitcnt lgkmcnt(12)
	v_add_f64 v[100:101], v[100:101], v[76:77]
	;; [unrolled: 2-line block ×4, first 2 shown]
	v_add_f64 v[100:101], v[76:77], v[80:81]
	v_fma_f64 v[100:101], -0.5, v[100:101], v[8:9]
	v_add_f64 v[102:103], v[74:75], -v[94:95]
	v_fma_f64 v[108:109], s[2:3], v[102:103], v[100:101]
	v_add_f64 v[106:107], v[78:79], -v[82:83]
	v_add_f64 v[110:111], v[72:73], -v[76:77]
	;; [unrolled: 1-line block ×3, first 2 shown]
	v_fmac_f64_e32 v[100:101], s[14:15], v[102:103]
	v_fmac_f64_e32 v[108:109], s[6:7], v[106:107]
	v_add_f64 v[110:111], v[110:111], v[112:113]
	v_fmac_f64_e32 v[100:101], s[8:9], v[106:107]
	v_fmac_f64_e32 v[108:109], s[4:5], v[110:111]
	;; [unrolled: 1-line block ×3, first 2 shown]
	v_add_f64 v[110:111], v[72:73], v[92:93]
	v_fmac_f64_e32 v[8:9], -0.5, v[110:111]
	v_fma_f64 v[112:113], s[14:15], v[106:107], v[8:9]
	v_fmac_f64_e32 v[8:9], s[2:3], v[106:107]
	v_fmac_f64_e32 v[112:113], s[6:7], v[102:103]
	;; [unrolled: 1-line block ×3, first 2 shown]
	v_add_f64 v[102:103], v[10:11], v[74:75]
	v_add_f64 v[102:103], v[102:103], v[78:79]
	;; [unrolled: 1-line block ×3, first 2 shown]
	v_add_f64 v[110:111], v[76:77], -v[72:73]
	v_add_f64 v[114:115], v[80:81], -v[92:93]
	v_add_f64 v[106:107], v[102:103], v[94:95]
	v_add_f64 v[102:103], v[78:79], v[82:83]
	;; [unrolled: 1-line block ×3, first 2 shown]
	v_fma_f64 v[102:103], -0.5, v[102:103], v[10:11]
	v_add_f64 v[72:73], v[72:73], -v[92:93]
	v_fmac_f64_e32 v[112:113], s[4:5], v[110:111]
	v_fmac_f64_e32 v[8:9], s[4:5], v[110:111]
	v_fma_f64 v[110:111], s[14:15], v[72:73], v[102:103]
	v_add_f64 v[76:77], v[76:77], -v[80:81]
	v_add_f64 v[80:81], v[74:75], -v[78:79]
	;; [unrolled: 1-line block ×3, first 2 shown]
	v_fmac_f64_e32 v[102:103], s[2:3], v[72:73]
	v_fmac_f64_e32 v[110:111], s[8:9], v[76:77]
	v_add_f64 v[80:81], v[80:81], v[92:93]
	v_fmac_f64_e32 v[102:103], s[6:7], v[76:77]
	v_fmac_f64_e32 v[110:111], s[4:5], v[80:81]
	;; [unrolled: 1-line block ×3, first 2 shown]
	v_add_f64 v[80:81], v[74:75], v[94:95]
	v_fmac_f64_e32 v[10:11], -0.5, v[80:81]
	v_fma_f64 v[114:115], s[2:3], v[76:77], v[10:11]
	v_fmac_f64_e32 v[10:11], s[14:15], v[76:77]
	v_fmac_f64_e32 v[114:115], s[8:9], v[72:73]
	;; [unrolled: 1-line block ×3, first 2 shown]
	s_waitcnt lgkmcnt(8)
	v_add_f64 v[72:73], v[12:13], v[48:49]
	s_waitcnt lgkmcnt(7)
	v_add_f64 v[72:73], v[72:73], v[56:57]
	v_add_f64 v[74:75], v[78:79], -v[74:75]
	v_add_f64 v[78:79], v[82:83], -v[94:95]
	s_waitcnt lgkmcnt(6)
	v_add_f64 v[72:73], v[72:73], v[60:61]
	v_add_f64 v[74:75], v[74:75], v[78:79]
	s_waitcnt lgkmcnt(5)
	v_add_f64 v[76:77], v[72:73], v[64:65]
	v_add_f64 v[72:73], v[56:57], v[60:61]
	v_fmac_f64_e32 v[114:115], s[4:5], v[74:75]
	v_fmac_f64_e32 v[10:11], s[4:5], v[74:75]
	v_fma_f64 v[72:73], -0.5, v[72:73], v[12:13]
	v_add_f64 v[74:75], v[50:51], -v[66:67]
	v_fma_f64 v[80:81], s[2:3], v[74:75], v[72:73]
	v_add_f64 v[78:79], v[58:59], -v[62:63]
	v_add_f64 v[82:83], v[48:49], -v[56:57]
	;; [unrolled: 1-line block ×3, first 2 shown]
	v_fmac_f64_e32 v[72:73], s[14:15], v[74:75]
	v_fmac_f64_e32 v[80:81], s[6:7], v[78:79]
	v_add_f64 v[82:83], v[82:83], v[92:93]
	v_fmac_f64_e32 v[72:73], s[8:9], v[78:79]
	v_fmac_f64_e32 v[80:81], s[4:5], v[82:83]
	;; [unrolled: 1-line block ×3, first 2 shown]
	v_add_f64 v[82:83], v[48:49], v[64:65]
	v_fmac_f64_e32 v[12:13], -0.5, v[82:83]
	v_fma_f64 v[92:93], s[14:15], v[78:79], v[12:13]
	v_fmac_f64_e32 v[12:13], s[2:3], v[78:79]
	v_fmac_f64_e32 v[92:93], s[6:7], v[74:75]
	;; [unrolled: 1-line block ×3, first 2 shown]
	v_add_f64 v[74:75], v[14:15], v[50:51]
	v_add_f64 v[74:75], v[74:75], v[58:59]
	;; [unrolled: 1-line block ×3, first 2 shown]
	v_add_f64 v[82:83], v[56:57], -v[48:49]
	v_add_f64 v[94:95], v[60:61], -v[64:65]
	v_add_f64 v[78:79], v[74:75], v[66:67]
	v_add_f64 v[74:75], v[58:59], v[62:63]
	;; [unrolled: 1-line block ×3, first 2 shown]
	v_fma_f64 v[74:75], -0.5, v[74:75], v[14:15]
	v_add_f64 v[48:49], v[48:49], -v[64:65]
	v_fmac_f64_e32 v[92:93], s[4:5], v[82:83]
	v_fmac_f64_e32 v[12:13], s[4:5], v[82:83]
	v_fma_f64 v[82:83], s[14:15], v[48:49], v[74:75]
	v_add_f64 v[56:57], v[56:57], -v[60:61]
	v_add_f64 v[60:61], v[50:51], -v[58:59]
	v_add_f64 v[64:65], v[66:67], -v[62:63]
	v_fmac_f64_e32 v[74:75], s[2:3], v[48:49]
	v_fmac_f64_e32 v[82:83], s[8:9], v[56:57]
	v_add_f64 v[60:61], v[60:61], v[64:65]
	v_fmac_f64_e32 v[74:75], s[6:7], v[56:57]
	v_fmac_f64_e32 v[82:83], s[4:5], v[60:61]
	;; [unrolled: 1-line block ×3, first 2 shown]
	v_add_f64 v[60:61], v[50:51], v[66:67]
	v_fmac_f64_e32 v[14:15], -0.5, v[60:61]
	v_fma_f64 v[94:95], s[2:3], v[56:57], v[14:15]
	v_add_f64 v[50:51], v[58:59], -v[50:51]
	v_add_f64 v[58:59], v[62:63], -v[66:67]
	v_fmac_f64_e32 v[14:15], s[14:15], v[56:57]
	v_fmac_f64_e32 v[94:95], s[8:9], v[48:49]
	v_add_f64 v[50:51], v[50:51], v[58:59]
	v_fmac_f64_e32 v[14:15], s[6:7], v[48:49]
	v_fmac_f64_e32 v[94:95], s[4:5], v[50:51]
	v_fmac_f64_e32 v[14:15], s[4:5], v[50:51]
	s_waitcnt lgkmcnt(1)
	v_add_f64 v[50:51], v[28:29], v[36:37]
	v_fma_f64 v[56:57], -0.5, v[50:51], v[16:17]
	s_waitcnt lgkmcnt(0)
	v_add_f64 v[50:51], v[22:23], -v[46:47]
	v_fma_f64 v[60:61], s[2:3], v[50:51], v[56:57]
	v_add_f64 v[58:59], v[30:31], -v[38:39]
	v_add_f64 v[62:63], v[20:21], -v[28:29]
	;; [unrolled: 1-line block ×3, first 2 shown]
	v_fmac_f64_e32 v[56:57], s[14:15], v[50:51]
	v_fmac_f64_e32 v[60:61], s[6:7], v[58:59]
	v_add_f64 v[62:63], v[62:63], v[64:65]
	v_fmac_f64_e32 v[56:57], s[8:9], v[58:59]
	v_fmac_f64_e32 v[60:61], s[4:5], v[62:63]
	;; [unrolled: 1-line block ×3, first 2 shown]
	v_add_f64 v[62:63], v[20:21], v[44:45]
	v_add_f64 v[48:49], v[16:17], v[20:21]
	v_fmac_f64_e32 v[16:17], -0.5, v[62:63]
	v_add_f64 v[48:49], v[48:49], v[28:29]
	v_fma_f64 v[64:65], s[14:15], v[58:59], v[16:17]
	v_add_f64 v[62:63], v[28:29], -v[20:21]
	v_add_f64 v[66:67], v[36:37], -v[44:45]
	v_fmac_f64_e32 v[16:17], s[2:3], v[58:59]
	v_add_f64 v[58:59], v[30:31], v[38:39]
	v_add_f64 v[48:49], v[48:49], v[36:37]
	v_fmac_f64_e32 v[64:65], s[6:7], v[50:51]
	v_add_f64 v[62:63], v[62:63], v[66:67]
	v_fmac_f64_e32 v[16:17], s[8:9], v[50:51]
	v_fma_f64 v[58:59], -0.5, v[58:59], v[18:19]
	v_add_f64 v[20:21], v[20:21], -v[44:45]
	v_add_f64 v[48:49], v[48:49], v[44:45]
	v_fmac_f64_e32 v[64:65], s[4:5], v[62:63]
	v_fmac_f64_e32 v[16:17], s[4:5], v[62:63]
	v_fma_f64 v[62:63], s[14:15], v[20:21], v[58:59]
	v_add_f64 v[28:29], v[28:29], -v[36:37]
	v_add_f64 v[36:37], v[22:23], -v[30:31]
	;; [unrolled: 1-line block ×3, first 2 shown]
	v_fmac_f64_e32 v[58:59], s[2:3], v[20:21]
	v_fmac_f64_e32 v[62:63], s[8:9], v[28:29]
	v_add_f64 v[36:37], v[36:37], v[44:45]
	v_fmac_f64_e32 v[58:59], s[6:7], v[28:29]
	v_fmac_f64_e32 v[62:63], s[4:5], v[36:37]
	;; [unrolled: 1-line block ×3, first 2 shown]
	v_add_f64 v[36:37], v[22:23], v[46:47]
	v_add_f64 v[50:51], v[18:19], v[22:23]
	v_fmac_f64_e32 v[18:19], -0.5, v[36:37]
	v_fma_f64 v[66:67], s[2:3], v[28:29], v[18:19]
	v_fmac_f64_e32 v[18:19], s[14:15], v[28:29]
	v_fmac_f64_e32 v[66:67], s[8:9], v[20:21]
	v_fmac_f64_e32 v[18:19], s[6:7], v[20:21]
	v_mul_lo_u16_e32 v20, 5, v158
	v_lshlrev_b32_e32 v20, 4, v20
	s_barrier
	buffer_store_dword v20, off, s[24:27], 0 offset:68 ; 4-byte Folded Spill
	ds_write_b128 v20, v[32:35]
	ds_write_b128 v20, v[40:43] offset:16
	ds_write_b128 v20, v[52:55] offset:32
	;; [unrolled: 1-line block ×4, first 2 shown]
	v_mul_u32_u24_e32 v0, 5, v186
	v_lshlrev_b32_e32 v0, 4, v0
	buffer_store_dword v0, off, s[24:27], 0 offset:64 ; 4-byte Folded Spill
	ds_write_b128 v0, v[84:87]
	ds_write_b128 v0, v[88:91] offset:16
	ds_write_b128 v0, v[96:99] offset:32
	;; [unrolled: 1-line block ×4, first 2 shown]
	v_mul_u32_u24_e32 v0, 5, v187
	v_lshlrev_b32_e32 v0, 4, v0
	buffer_store_dword v0, off, s[24:27], 0 offset:60 ; 4-byte Folded Spill
	ds_write_b128 v0, v[104:107]
	ds_write_b128 v0, v[108:111] offset:16
	ds_write_b128 v0, v[112:115] offset:32
	;; [unrolled: 1-line block ×4, first 2 shown]
	v_mul_lo_u16_sdwa v100, v158, s18 dst_sel:DWORD dst_unused:UNUSED_PAD src0_sel:BYTE_0 src1_sel:DWORD
	v_lshrrev_b16_e32 v156, 10, v100
	v_mul_u32_u24_e32 v0, 5, v188
	v_mul_lo_u16_e32 v100, 5, v156
	v_add_f64 v[50:51], v[50:51], v[30:31]
	v_add_f64 v[22:23], v[30:31], -v[22:23]
	v_add_f64 v[30:31], v[38:39], -v[46:47]
	v_lshlrev_b32_e32 v0, 4, v0
	v_sub_u16_e32 v100, v158, v100
	v_add_f64 v[50:51], v[50:51], v[38:39]
	v_add_f64 v[22:23], v[22:23], v[30:31]
	buffer_store_dword v0, off, s[24:27], 0 offset:56 ; 4-byte Folded Spill
	ds_write_b128 v0, v[76:79]
	ds_write_b128 v0, v[80:83] offset:16
	ds_write_b128 v0, v[92:95] offset:32
	;; [unrolled: 1-line block ×4, first 2 shown]
	v_mul_u32_u24_e32 v0, 5, v163
	v_and_b32_e32 v157, 0xff, v100
	v_add_f64 v[50:51], v[50:51], v[46:47]
	v_fmac_f64_e32 v[66:67], s[4:5], v[22:23]
	v_fmac_f64_e32 v[18:19], s[4:5], v[22:23]
	v_lshlrev_b32_e32 v0, 4, v0
	v_lshlrev_b32_e32 v100, 6, v157
	buffer_store_dword v0, off, s[24:27], 0 offset:4 ; 4-byte Folded Spill
	ds_write_b128 v0, v[48:51]
	ds_write_b128 v0, v[60:63] offset:16
	ds_write_b128 v0, v[64:67] offset:32
	;; [unrolled: 1-line block ×4, first 2 shown]
	s_waitcnt lgkmcnt(0)
	s_barrier
	ds_read_b128 v[16:19], v243
	ds_read_b128 v[96:99], v243 offset:10000
	ds_read_b128 v[92:95], v243 offset:20000
	;; [unrolled: 1-line block ×24, first 2 shown]
	global_load_dwordx4 v[108:111], v100, s[10:11] offset:48
	global_load_dwordx4 v[112:115], v100, s[10:11] offset:32
	;; [unrolled: 1-line block ×3, first 2 shown]
	global_load_dwordx4 v[116:119], v100, s[10:11]
	s_waitcnt vmcnt(3)
	v_accvgpr_write_b32 a104, v108
	s_waitcnt vmcnt(2)
	v_accvgpr_write_b32 a108, v112
	v_accvgpr_write_b32 a109, v113
	s_waitcnt vmcnt(0) lgkmcnt(14)
	v_mul_f64 v[100:101], v[98:99], v[118:119]
	v_fma_f64 v[102:103], v[96:97], v[116:117], -v[100:101]
	v_mul_f64 v[100:101], v[96:97], v[118:119]
	v_accvgpr_write_b32 a116, v116
	v_fmac_f64_e32 v[100:101], v[98:99], v[116:117]
	v_accvgpr_write_b32 a117, v117
	v_accvgpr_write_b32 a118, v118
	;; [unrolled: 1-line block ×3, first 2 shown]
	v_pk_mov_b32 v[118:119], v[106:107], v[106:107] op_sel:[0,1]
	v_pk_mov_b32 v[116:117], v[104:105], v[104:105] op_sel:[0,1]
	v_mul_f64 v[96:97], v[94:95], v[118:119]
	v_fma_f64 v[104:105], v[92:93], v[116:117], -v[96:97]
	v_mul_f64 v[92:93], v[92:93], v[118:119]
	v_fmac_f64_e32 v[92:93], v[94:95], v[116:117]
	v_mul_f64 v[94:95], v[90:91], v[114:115]
	v_fma_f64 v[106:107], v[88:89], v[112:113], -v[94:95]
	v_mul_f64 v[94:95], v[88:89], v[114:115]
	v_mul_f64 v[88:89], v[86:87], v[110:111]
	v_fmac_f64_e32 v[94:95], v[90:91], v[112:113]
	v_fma_f64 v[90:91], v[84:85], v[108:109], -v[88:89]
	v_mul_f64 v[84:85], v[84:85], v[110:111]
	v_fmac_f64_e32 v[84:85], v[86:87], v[108:109]
	v_mul_lo_u16_sdwa v86, v186, s18 dst_sel:DWORD dst_unused:UNUSED_PAD src0_sel:BYTE_0 src1_sel:DWORD
	v_lshrrev_b16_e32 v154, 10, v86
	v_mul_lo_u16_e32 v86, 5, v154
	v_sub_u16_e32 v86, v186, v86
	v_and_b32_e32 v155, 0xff, v86
	v_accvgpr_write_b32 a112, v116
	v_lshlrev_b32_e32 v86, 6, v155
	v_accvgpr_write_b32 a113, v117
	v_accvgpr_write_b32 a114, v118
	;; [unrolled: 1-line block ×8, first 2 shown]
	global_load_dwordx4 v[96:99], v86, s[10:11] offset:48
	global_load_dwordx4 v[114:117], v86, s[10:11] offset:32
	global_load_dwordx4 v[110:113], v86, s[10:11] offset:16
	global_load_dwordx4 v[118:121], v86, s[10:11]
	s_mov_b32 s18, 0xcccd
	s_waitcnt vmcnt(3)
	v_accvgpr_write_b32 a125, v99
	s_waitcnt vmcnt(2)
	v_accvgpr_write_b32 a129, v117
	v_accvgpr_write_b32 a128, v116
	s_waitcnt vmcnt(0)
	v_mul_f64 v[86:87], v[82:83], v[120:121]
	v_mul_f64 v[108:109], v[80:81], v[120:121]
	v_accvgpr_write_b32 a137, v121
	v_fma_f64 v[86:87], v[80:81], v[118:119], -v[86:87]
	v_fmac_f64_e32 v[108:109], v[82:83], v[118:119]
	v_accvgpr_write_b32 a136, v120
	v_accvgpr_write_b32 a135, v119
	;; [unrolled: 1-line block ×3, first 2 shown]
	v_pk_mov_b32 v[120:121], v[112:113], v[112:113] op_sel:[0,1]
	v_pk_mov_b32 v[118:119], v[110:111], v[110:111] op_sel:[0,1]
	v_mul_f64 v[80:81], v[78:79], v[120:121]
	v_fma_f64 v[112:113], v[76:77], v[118:119], -v[80:81]
	v_mul_f64 v[110:111], v[76:77], v[120:121]
	v_mul_f64 v[76:77], v[74:75], v[116:117]
	v_fmac_f64_e32 v[110:111], v[78:79], v[118:119]
	v_fma_f64 v[78:79], v[72:73], v[114:115], -v[76:77]
	v_mul_f64 v[72:73], v[72:73], v[116:117]
	v_fmac_f64_e32 v[72:73], v[74:75], v[114:115]
	v_mul_f64 v[74:75], v[70:71], v[98:99]
	v_accvgpr_write_b32 a127, v115
	v_accvgpr_write_b32 a126, v114
	v_fma_f64 v[114:115], v[68:69], v[96:97], -v[74:75]
	v_mul_f64 v[74:75], v[68:69], v[98:99]
	v_mul_u32_u24_sdwa v68, v187, s18 dst_sel:DWORD dst_unused:UNUSED_PAD src0_sel:WORD_0 src1_sel:DWORD
	v_lshrrev_b32_e32 v152, 18, v68
	v_mul_lo_u16_e32 v68, 5, v152
	v_sub_u16_e32 v153, v187, v68
	v_lshlrev_b16_e32 v68, 2, v153
	v_accvgpr_write_b32 a133, v121
	v_lshlrev_b32_e32 v68, 4, v68
	v_accvgpr_write_b32 a132, v120
	v_accvgpr_write_b32 a131, v119
	;; [unrolled: 1-line block ×3, first 2 shown]
	v_fmac_f64_e32 v[74:75], v[70:71], v[96:97]
	v_accvgpr_write_b32 a124, v98
	v_accvgpr_write_b32 a123, v97
	;; [unrolled: 1-line block ×3, first 2 shown]
	global_load_dwordx4 v[80:83], v68, s[10:11] offset:48
	global_load_dwordx4 v[96:99], v68, s[10:11] offset:32
	;; [unrolled: 1-line block ×3, first 2 shown]
	global_load_dwordx4 v[126:129], v68, s[10:11]
	s_waitcnt vmcnt(3) lgkmcnt(10)
	v_mul_f64 v[122:123], v[52:53], v[82:83]
	v_fmac_f64_e32 v[122:123], v[54:55], v[80:81]
	s_waitcnt vmcnt(2)
	v_accvgpr_write_b32 a145, v99
	s_waitcnt vmcnt(0)
	v_mul_f64 v[68:69], v[66:67], v[128:129]
	v_mul_f64 v[116:117], v[64:65], v[128:129]
	v_fma_f64 v[124:125], v[64:65], v[126:127], -v[68:69]
	v_fmac_f64_e32 v[116:117], v[66:67], v[126:127]
	v_pk_mov_b32 v[66:67], v[118:119], v[118:119] op_sel:[0,1]
	v_pk_mov_b32 v[68:69], v[120:121], v[120:121] op_sel:[0,1]
	v_accvgpr_write_b32 a153, v129
	v_mul_f64 v[64:65], v[62:63], v[68:69]
	v_accvgpr_write_b32 a152, v128
	v_accvgpr_write_b32 a151, v127
	;; [unrolled: 1-line block ×3, first 2 shown]
	v_fma_f64 v[126:127], v[60:61], v[66:67], -v[64:65]
	v_mul_f64 v[118:119], v[60:61], v[68:69]
	v_mul_f64 v[60:61], v[58:59], v[98:99]
	v_fma_f64 v[128:129], v[56:57], v[96:97], -v[60:61]
	v_mul_f64 v[120:121], v[56:57], v[98:99]
	v_mul_f64 v[56:57], v[54:55], v[82:83]
	v_fmac_f64_e32 v[120:121], v[58:59], v[96:97]
	v_fma_f64 v[58:59], v[52:53], v[80:81], -v[56:57]
	v_mul_u32_u24_sdwa v52, v188, s18 dst_sel:DWORD dst_unused:UNUSED_PAD src0_sel:WORD_0 src1_sel:DWORD
	v_lshrrev_b32_e32 v148, 18, v52
	v_mul_lo_u16_e32 v52, 5, v148
	v_sub_u16_e32 v149, v188, v52
	v_lshlrev_b16_e32 v52, 2, v149
	v_accvgpr_write_b32 a149, v69
	v_lshlrev_b32_e32 v52, 4, v52
	v_fmac_f64_e32 v[118:119], v[62:63], v[66:67]
	v_accvgpr_write_b32 a148, v68
	v_accvgpr_write_b32 a147, v67
	;; [unrolled: 1-line block ×3, first 2 shown]
	global_load_dwordx4 v[54:57], v52, s[10:11] offset:48
	global_load_dwordx4 v[60:63], v52, s[10:11] offset:32
	;; [unrolled: 1-line block ×3, first 2 shown]
	global_load_dwordx4 v[68:71], v52, s[10:11]
	v_accvgpr_write_b32 a144, v98
	v_accvgpr_write_b32 a143, v97
	;; [unrolled: 1-line block ×7, first 2 shown]
	s_waitcnt vmcnt(3)
	v_accvgpr_write_b32 a171, v57
	s_waitcnt vmcnt(2)
	v_accvgpr_write_b32 a167, v63
	;; [unrolled: 2-line block ×3, first 2 shown]
	s_waitcnt vmcnt(0) lgkmcnt(8)
	v_mul_f64 v[52:53], v[50:51], v[70:71]
	v_fma_f64 v[130:131], v[48:49], v[68:69], -v[52:53]
	v_mul_f64 v[48:49], v[48:49], v[70:71]
	v_fmac_f64_e32 v[48:49], v[50:51], v[68:69]
	s_waitcnt lgkmcnt(7)
	v_mul_f64 v[50:51], v[46:47], v[66:67]
	v_fma_f64 v[50:51], v[44:45], v[64:65], -v[50:51]
	v_mul_f64 v[44:45], v[44:45], v[66:67]
	v_fmac_f64_e32 v[44:45], v[46:47], v[64:65]
	s_waitcnt lgkmcnt(6)
	;; [unrolled: 5-line block ×3, first 2 shown]
	v_mul_f64 v[42:43], v[38:39], v[56:57]
	v_fma_f64 v[138:139], v[36:37], v[54:55], -v[42:43]
	v_mul_f64 v[36:37], v[36:37], v[56:57]
	v_fmac_f64_e32 v[36:37], v[38:39], v[54:55]
	v_mul_u32_u24_sdwa v38, v163, s18 dst_sel:DWORD dst_unused:UNUSED_PAD src0_sel:WORD_0 src1_sel:DWORD
	v_lshrrev_b32_e32 v150, 18, v38
	v_mul_lo_u16_e32 v38, 5, v150
	v_sub_u16_e32 v151, v163, v38
	v_lshlrev_b16_e32 v38, 2, v151
	v_lshlrev_b32_e32 v38, 4, v38
	v_accvgpr_write_b32 a162, v66
	v_accvgpr_write_b32 a161, v65
	;; [unrolled: 1-line block ×9, first 2 shown]
	global_load_dwordx4 v[52:55], v38, s[10:11] offset:48
	global_load_dwordx4 v[60:63], v38, s[10:11] offset:32
	global_load_dwordx4 v[64:67], v38, s[10:11] offset:16
	global_load_dwordx4 v[168:171], v38, s[10:11]
	v_accvgpr_write_b32 a159, v71
	v_accvgpr_write_b32 a158, v70
	v_accvgpr_write_b32 a157, v69
	v_accvgpr_write_b32 a156, v68
	s_waitcnt lgkmcnt(0)
	s_barrier
	s_movk_i32 s18, 0x47af
	s_waitcnt vmcnt(3)
	v_mul_f64 v[142:143], v[20:21], v[54:55]
	s_waitcnt vmcnt(2)
	v_mul_f64 v[136:137], v[24:25], v[62:63]
	;; [unrolled: 2-line block ×4, first 2 shown]
	v_fma_f64 v[42:43], v[32:33], v[168:169], -v[38:39]
	v_mul_f64 v[132:133], v[32:33], v[170:171]
	v_mul_f64 v[32:33], v[30:31], v[66:67]
	v_fma_f64 v[140:141], v[28:29], v[64:65], -v[32:33]
	v_mul_f64 v[28:29], v[26:27], v[62:63]
	v_fma_f64 v[144:145], v[24:25], v[60:61], -v[28:29]
	;; [unrolled: 2-line block ×3, first 2 shown]
	v_add_f64 v[20:21], v[16:17], v[102:103]
	v_add_f64 v[20:21], v[20:21], v[104:105]
	;; [unrolled: 1-line block ×5, first 2 shown]
	v_fma_f64 v[68:69], -0.5, v[20:21], v[16:17]
	v_add_f64 v[20:21], v[100:101], -v[84:85]
	v_fmac_f64_e32 v[136:137], v[26:27], v[60:61]
	v_fmac_f64_e32 v[142:143], v[22:23], v[52:53]
	v_fma_f64 v[88:89], s[2:3], v[20:21], v[68:69]
	v_add_f64 v[22:23], v[92:93], -v[94:95]
	v_add_f64 v[24:25], v[102:103], -v[104:105]
	;; [unrolled: 1-line block ×3, first 2 shown]
	v_fmac_f64_e32 v[68:69], s[14:15], v[20:21]
	v_fmac_f64_e32 v[88:89], s[6:7], v[22:23]
	v_add_f64 v[24:25], v[24:25], v[26:27]
	v_fmac_f64_e32 v[68:69], s[8:9], v[22:23]
	v_fmac_f64_e32 v[88:89], s[4:5], v[24:25]
	;; [unrolled: 1-line block ×3, first 2 shown]
	v_add_f64 v[24:25], v[102:103], v[90:91]
	v_fmac_f64_e32 v[16:17], -0.5, v[24:25]
	v_fma_f64 v[80:81], s[14:15], v[22:23], v[16:17]
	v_fmac_f64_e32 v[16:17], s[2:3], v[22:23]
	v_fmac_f64_e32 v[80:81], s[6:7], v[20:21]
	;; [unrolled: 1-line block ×3, first 2 shown]
	v_add_f64 v[20:21], v[18:19], v[100:101]
	v_add_f64 v[20:21], v[20:21], v[92:93]
	v_add_f64 v[20:21], v[20:21], v[94:95]
	v_add_f64 v[24:25], v[104:105], -v[102:103]
	v_add_f64 v[26:27], v[106:107], -v[90:91]
	v_add_f64 v[98:99], v[20:21], v[84:85]
	v_add_f64 v[20:21], v[92:93], v[94:95]
	;; [unrolled: 1-line block ×3, first 2 shown]
	v_fma_f64 v[70:71], -0.5, v[20:21], v[18:19]
	v_add_f64 v[20:21], v[102:103], -v[90:91]
	v_fmac_f64_e32 v[80:81], s[4:5], v[24:25]
	v_fmac_f64_e32 v[16:17], s[4:5], v[24:25]
	v_fma_f64 v[90:91], s[14:15], v[20:21], v[70:71]
	v_add_f64 v[22:23], v[104:105], -v[106:107]
	v_add_f64 v[24:25], v[100:101], -v[92:93]
	;; [unrolled: 1-line block ×3, first 2 shown]
	v_fmac_f64_e32 v[70:71], s[2:3], v[20:21]
	v_fmac_f64_e32 v[90:91], s[8:9], v[22:23]
	v_add_f64 v[24:25], v[24:25], v[26:27]
	v_fmac_f64_e32 v[70:71], s[6:7], v[22:23]
	v_fmac_f64_e32 v[90:91], s[4:5], v[24:25]
	;; [unrolled: 1-line block ×3, first 2 shown]
	v_add_f64 v[24:25], v[100:101], v[84:85]
	v_fmac_f64_e32 v[18:19], -0.5, v[24:25]
	v_fma_f64 v[82:83], s[2:3], v[22:23], v[18:19]
	v_fmac_f64_e32 v[18:19], s[14:15], v[22:23]
	v_fmac_f64_e32 v[82:83], s[8:9], v[20:21]
	;; [unrolled: 1-line block ×3, first 2 shown]
	v_add_f64 v[20:21], v[12:13], v[86:87]
	v_add_f64 v[20:21], v[20:21], v[112:113]
	v_add_f64 v[20:21], v[20:21], v[78:79]
	v_accvgpr_write_b32 a175, v67
	v_add_f64 v[24:25], v[92:93], -v[100:101]
	v_add_f64 v[26:27], v[94:95], -v[84:85]
	v_add_f64 v[92:93], v[20:21], v[114:115]
	v_add_f64 v[20:21], v[112:113], v[78:79]
	v_fmac_f64_e32 v[134:135], v[30:31], v[64:65]
	v_accvgpr_write_b32 a174, v66
	v_accvgpr_write_b32 a173, v65
	;; [unrolled: 1-line block ×3, first 2 shown]
	v_add_f64 v[24:25], v[24:25], v[26:27]
	v_fma_f64 v[64:65], -0.5, v[20:21], v[12:13]
	v_add_f64 v[20:21], v[108:109], -v[74:75]
	v_fmac_f64_e32 v[82:83], s[4:5], v[24:25]
	v_fmac_f64_e32 v[18:19], s[4:5], v[24:25]
	v_fma_f64 v[84:85], s[2:3], v[20:21], v[64:65]
	v_add_f64 v[22:23], v[110:111], -v[72:73]
	v_add_f64 v[24:25], v[86:87], -v[112:113]
	;; [unrolled: 1-line block ×3, first 2 shown]
	v_fmac_f64_e32 v[64:65], s[14:15], v[20:21]
	v_fmac_f64_e32 v[84:85], s[6:7], v[22:23]
	v_add_f64 v[24:25], v[24:25], v[26:27]
	v_fmac_f64_e32 v[64:65], s[8:9], v[22:23]
	v_fmac_f64_e32 v[84:85], s[4:5], v[24:25]
	;; [unrolled: 1-line block ×3, first 2 shown]
	v_add_f64 v[24:25], v[86:87], v[114:115]
	v_fmac_f64_e32 v[12:13], -0.5, v[24:25]
	v_fma_f64 v[76:77], s[14:15], v[22:23], v[12:13]
	v_fmac_f64_e32 v[12:13], s[2:3], v[22:23]
	v_fmac_f64_e32 v[76:77], s[6:7], v[20:21]
	;; [unrolled: 1-line block ×3, first 2 shown]
	v_add_f64 v[20:21], v[14:15], v[108:109]
	v_add_f64 v[20:21], v[20:21], v[110:111]
	;; [unrolled: 1-line block ×3, first 2 shown]
	v_add_f64 v[24:25], v[112:113], -v[86:87]
	v_add_f64 v[26:27], v[78:79], -v[114:115]
	v_add_f64 v[94:95], v[20:21], v[74:75]
	v_add_f64 v[20:21], v[110:111], v[72:73]
	;; [unrolled: 1-line block ×3, first 2 shown]
	v_fma_f64 v[66:67], -0.5, v[20:21], v[14:15]
	v_add_f64 v[20:21], v[86:87], -v[114:115]
	v_fmac_f64_e32 v[76:77], s[4:5], v[24:25]
	v_fmac_f64_e32 v[12:13], s[4:5], v[24:25]
	v_fma_f64 v[86:87], s[14:15], v[20:21], v[66:67]
	v_add_f64 v[22:23], v[112:113], -v[78:79]
	v_add_f64 v[24:25], v[108:109], -v[110:111]
	;; [unrolled: 1-line block ×3, first 2 shown]
	v_fmac_f64_e32 v[66:67], s[2:3], v[20:21]
	v_fmac_f64_e32 v[86:87], s[8:9], v[22:23]
	v_add_f64 v[24:25], v[24:25], v[26:27]
	v_fmac_f64_e32 v[66:67], s[6:7], v[22:23]
	v_fmac_f64_e32 v[86:87], s[4:5], v[24:25]
	v_fmac_f64_e32 v[66:67], s[4:5], v[24:25]
	v_add_f64 v[24:25], v[108:109], v[74:75]
	v_fmac_f64_e32 v[14:15], -0.5, v[24:25]
	v_fma_f64 v[78:79], s[2:3], v[22:23], v[14:15]
	v_fmac_f64_e32 v[14:15], s[14:15], v[22:23]
	v_fmac_f64_e32 v[78:79], s[8:9], v[20:21]
	;; [unrolled: 1-line block ×3, first 2 shown]
	v_add_f64 v[20:21], v[8:9], v[124:125]
	v_add_f64 v[20:21], v[20:21], v[126:127]
	;; [unrolled: 1-line block ×3, first 2 shown]
	v_accvgpr_write_b32 a183, v55
	v_add_f64 v[24:25], v[110:111], -v[108:109]
	v_add_f64 v[26:27], v[72:73], -v[74:75]
	v_add_f64 v[72:73], v[20:21], v[58:59]
	v_add_f64 v[20:21], v[126:127], v[128:129]
	v_accvgpr_write_b32 a179, v63
	v_accvgpr_write_b32 a182, v54
	v_accvgpr_write_b32 a181, v53
	v_accvgpr_write_b32 a180, v52
	v_add_f64 v[24:25], v[24:25], v[26:27]
	v_fma_f64 v[52:53], -0.5, v[20:21], v[8:9]
	v_add_f64 v[20:21], v[116:117], -v[122:123]
	v_accvgpr_write_b32 a178, v62
	v_accvgpr_write_b32 a177, v61
	;; [unrolled: 1-line block ×3, first 2 shown]
	v_fmac_f64_e32 v[78:79], s[4:5], v[24:25]
	v_fmac_f64_e32 v[14:15], s[4:5], v[24:25]
	v_fma_f64 v[60:61], s[2:3], v[20:21], v[52:53]
	v_add_f64 v[22:23], v[118:119], -v[120:121]
	v_add_f64 v[24:25], v[124:125], -v[126:127]
	;; [unrolled: 1-line block ×3, first 2 shown]
	v_fmac_f64_e32 v[52:53], s[14:15], v[20:21]
	v_fmac_f64_e32 v[60:61], s[6:7], v[22:23]
	v_add_f64 v[24:25], v[24:25], v[26:27]
	v_fmac_f64_e32 v[52:53], s[8:9], v[22:23]
	v_fmac_f64_e32 v[60:61], s[4:5], v[24:25]
	;; [unrolled: 1-line block ×3, first 2 shown]
	v_add_f64 v[24:25], v[124:125], v[58:59]
	v_fmac_f64_e32 v[8:9], -0.5, v[24:25]
	v_fma_f64 v[56:57], s[14:15], v[22:23], v[8:9]
	v_fmac_f64_e32 v[8:9], s[2:3], v[22:23]
	v_fmac_f64_e32 v[56:57], s[6:7], v[20:21]
	v_fmac_f64_e32 v[8:9], s[8:9], v[20:21]
	v_add_f64 v[20:21], v[10:11], v[116:117]
	v_add_f64 v[20:21], v[20:21], v[118:119]
	;; [unrolled: 1-line block ×3, first 2 shown]
	v_add_f64 v[24:25], v[126:127], -v[124:125]
	v_add_f64 v[26:27], v[128:129], -v[58:59]
	v_add_f64 v[74:75], v[20:21], v[122:123]
	v_add_f64 v[20:21], v[118:119], v[120:121]
	;; [unrolled: 1-line block ×3, first 2 shown]
	v_fma_f64 v[54:55], -0.5, v[20:21], v[10:11]
	v_add_f64 v[20:21], v[124:125], -v[58:59]
	v_fmac_f64_e32 v[56:57], s[4:5], v[24:25]
	v_fmac_f64_e32 v[8:9], s[4:5], v[24:25]
	v_fma_f64 v[62:63], s[14:15], v[20:21], v[54:55]
	v_add_f64 v[22:23], v[126:127], -v[128:129]
	v_add_f64 v[24:25], v[116:117], -v[118:119]
	;; [unrolled: 1-line block ×3, first 2 shown]
	v_fmac_f64_e32 v[54:55], s[2:3], v[20:21]
	v_fmac_f64_e32 v[62:63], s[8:9], v[22:23]
	v_add_f64 v[24:25], v[24:25], v[26:27]
	v_fmac_f64_e32 v[54:55], s[6:7], v[22:23]
	v_fmac_f64_e32 v[62:63], s[4:5], v[24:25]
	;; [unrolled: 1-line block ×3, first 2 shown]
	v_add_f64 v[24:25], v[116:117], v[122:123]
	v_fmac_f64_e32 v[10:11], -0.5, v[24:25]
	v_fma_f64 v[58:59], s[2:3], v[22:23], v[10:11]
	v_fmac_f64_e32 v[10:11], s[14:15], v[22:23]
	v_fmac_f64_e32 v[58:59], s[8:9], v[20:21]
	v_fmac_f64_e32 v[10:11], s[6:7], v[20:21]
	v_add_f64 v[20:21], v[4:5], v[130:131]
	v_add_f64 v[20:21], v[20:21], v[50:51]
	;; [unrolled: 1-line block ×3, first 2 shown]
	v_add_f64 v[24:25], v[118:119], -v[116:117]
	v_add_f64 v[26:27], v[120:121], -v[122:123]
	v_add_f64 v[28:29], v[20:21], v[138:139]
	v_add_f64 v[20:21], v[50:51], v[46:47]
	;; [unrolled: 1-line block ×3, first 2 shown]
	v_fma_f64 v[20:21], -0.5, v[20:21], v[4:5]
	v_add_f64 v[22:23], v[48:49], -v[36:37]
	v_fmac_f64_e32 v[58:59], s[4:5], v[24:25]
	v_fmac_f64_e32 v[10:11], s[4:5], v[24:25]
	v_fma_f64 v[24:25], s[2:3], v[22:23], v[20:21]
	v_add_f64 v[26:27], v[44:45], -v[40:41]
	v_add_f64 v[30:31], v[130:131], -v[50:51]
	;; [unrolled: 1-line block ×3, first 2 shown]
	v_fmac_f64_e32 v[20:21], s[14:15], v[22:23]
	v_fmac_f64_e32 v[24:25], s[6:7], v[26:27]
	v_add_f64 v[30:31], v[30:31], v[32:33]
	v_fmac_f64_e32 v[20:21], s[8:9], v[26:27]
	v_fmac_f64_e32 v[24:25], s[4:5], v[30:31]
	;; [unrolled: 1-line block ×3, first 2 shown]
	v_add_f64 v[30:31], v[130:131], v[138:139]
	v_fmac_f64_e32 v[4:5], -0.5, v[30:31]
	v_fma_f64 v[32:33], s[14:15], v[26:27], v[4:5]
	v_fmac_f64_e32 v[4:5], s[2:3], v[26:27]
	v_fmac_f64_e32 v[32:33], s[6:7], v[22:23]
	;; [unrolled: 1-line block ×3, first 2 shown]
	v_add_f64 v[22:23], v[6:7], v[48:49]
	v_fmac_f64_e32 v[132:133], v[34:35], v[168:169]
	v_add_f64 v[30:31], v[50:51], -v[130:131]
	v_add_f64 v[34:35], v[46:47], -v[138:139]
	v_add_f64 v[22:23], v[22:23], v[44:45]
	v_add_f64 v[30:31], v[30:31], v[34:35]
	;; [unrolled: 1-line block ×3, first 2 shown]
	v_fmac_f64_e32 v[32:33], s[4:5], v[30:31]
	v_fmac_f64_e32 v[4:5], s[4:5], v[30:31]
	v_add_f64 v[30:31], v[22:23], v[36:37]
	v_add_f64 v[22:23], v[44:45], v[40:41]
	v_fma_f64 v[22:23], -0.5, v[22:23], v[6:7]
	v_add_f64 v[38:39], v[130:131], -v[138:139]
	v_fma_f64 v[26:27], s[14:15], v[38:39], v[22:23]
	v_add_f64 v[46:47], v[50:51], -v[46:47]
	v_add_f64 v[34:35], v[48:49], -v[44:45]
	;; [unrolled: 1-line block ×3, first 2 shown]
	v_fmac_f64_e32 v[22:23], s[2:3], v[38:39]
	v_fmac_f64_e32 v[26:27], s[8:9], v[46:47]
	v_add_f64 v[34:35], v[34:35], v[50:51]
	v_fmac_f64_e32 v[22:23], s[6:7], v[46:47]
	v_fmac_f64_e32 v[26:27], s[4:5], v[34:35]
	;; [unrolled: 1-line block ×3, first 2 shown]
	v_add_f64 v[34:35], v[48:49], v[36:37]
	v_fmac_f64_e32 v[6:7], -0.5, v[34:35]
	v_fma_f64 v[34:35], s[2:3], v[46:47], v[6:7]
	v_add_f64 v[44:45], v[44:45], -v[48:49]
	v_add_f64 v[36:37], v[40:41], -v[36:37]
	v_fmac_f64_e32 v[6:7], s[14:15], v[46:47]
	v_fmac_f64_e32 v[34:35], s[8:9], v[38:39]
	v_add_f64 v[36:37], v[44:45], v[36:37]
	v_fmac_f64_e32 v[6:7], s[6:7], v[38:39]
	v_fmac_f64_e32 v[34:35], s[4:5], v[36:37]
	v_fmac_f64_e32 v[6:7], s[4:5], v[36:37]
	v_add_f64 v[36:37], v[0:1], v[42:43]
	v_add_f64 v[36:37], v[36:37], v[140:141]
	;; [unrolled: 1-line block ×5, first 2 shown]
	v_fma_f64 v[36:37], -0.5, v[36:37], v[0:1]
	v_add_f64 v[38:39], v[132:133], -v[142:143]
	v_fma_f64 v[40:41], s[2:3], v[38:39], v[36:37]
	v_add_f64 v[46:47], v[134:135], -v[136:137]
	v_add_f64 v[48:49], v[42:43], -v[140:141]
	;; [unrolled: 1-line block ×3, first 2 shown]
	v_fmac_f64_e32 v[36:37], s[14:15], v[38:39]
	v_fmac_f64_e32 v[40:41], s[6:7], v[46:47]
	v_add_f64 v[48:49], v[48:49], v[50:51]
	v_fmac_f64_e32 v[36:37], s[8:9], v[46:47]
	v_fmac_f64_e32 v[40:41], s[4:5], v[48:49]
	;; [unrolled: 1-line block ×3, first 2 shown]
	v_add_f64 v[48:49], v[42:43], v[146:147]
	v_fmac_f64_e32 v[0:1], -0.5, v[48:49]
	v_fma_f64 v[48:49], s[14:15], v[46:47], v[0:1]
	v_fmac_f64_e32 v[0:1], s[2:3], v[46:47]
	v_fmac_f64_e32 v[48:49], s[6:7], v[38:39]
	;; [unrolled: 1-line block ×3, first 2 shown]
	v_add_f64 v[38:39], v[2:3], v[132:133]
	v_add_f64 v[38:39], v[38:39], v[134:135]
	;; [unrolled: 1-line block ×3, first 2 shown]
	v_add_f64 v[50:51], v[140:141], -v[42:43]
	v_add_f64 v[100:101], v[144:145], -v[146:147]
	v_add_f64 v[46:47], v[38:39], v[142:143]
	v_add_f64 v[38:39], v[134:135], v[136:137]
	;; [unrolled: 1-line block ×3, first 2 shown]
	v_fma_f64 v[38:39], -0.5, v[38:39], v[2:3]
	v_add_f64 v[100:101], v[42:43], -v[146:147]
	v_fmac_f64_e32 v[48:49], s[4:5], v[50:51]
	v_fmac_f64_e32 v[0:1], s[4:5], v[50:51]
	v_fma_f64 v[42:43], s[14:15], v[100:101], v[38:39]
	v_add_f64 v[102:103], v[140:141], -v[144:145]
	v_add_f64 v[50:51], v[132:133], -v[134:135]
	;; [unrolled: 1-line block ×3, first 2 shown]
	v_fmac_f64_e32 v[38:39], s[2:3], v[100:101]
	v_fmac_f64_e32 v[42:43], s[8:9], v[102:103]
	v_add_f64 v[50:51], v[50:51], v[104:105]
	v_fmac_f64_e32 v[38:39], s[6:7], v[102:103]
	v_fmac_f64_e32 v[42:43], s[4:5], v[50:51]
	;; [unrolled: 1-line block ×3, first 2 shown]
	v_add_f64 v[50:51], v[132:133], v[142:143]
	v_fmac_f64_e32 v[2:3], -0.5, v[50:51]
	v_fma_f64 v[50:51], s[2:3], v[102:103], v[2:3]
	v_fmac_f64_e32 v[2:3], s[14:15], v[102:103]
	v_fmac_f64_e32 v[50:51], s[8:9], v[100:101]
	v_fmac_f64_e32 v[2:3], s[6:7], v[100:101]
	v_mul_u32_u24_e32 v100, 25, v156
	v_add_lshl_u32 v100, v100, v157, 4
	ds_write_b128 v100, v[96:99]
	buffer_store_dword v100, off, s[24:27], 0 offset:72 ; 4-byte Folded Spill
	ds_write_b128 v100, v[88:91] offset:80
	ds_write_b128 v100, v[80:83] offset:160
	;; [unrolled: 1-line block ×4, first 2 shown]
	v_mul_u32_u24_e32 v16, 25, v154
	v_add_f64 v[104:105], v[134:135], -v[132:133]
	v_add_f64 v[106:107], v[136:137], -v[142:143]
	v_add_lshl_u32 v16, v16, v155, 4
	v_add_f64 v[104:105], v[104:105], v[106:107]
	ds_write_b128 v16, v[92:95]
	buffer_store_dword v16, off, s[24:27], 0 offset:76 ; 4-byte Folded Spill
	ds_write_b128 v16, v[84:87] offset:80
	ds_write_b128 v16, v[76:79] offset:160
	;; [unrolled: 1-line block ×4, first 2 shown]
	v_mad_legacy_u16 v12, v152, 25, v153
	v_mov_b32_e32 v106, 41
	v_lshlrev_b32_e32 v12, 4, v12
	v_mul_lo_u16_sdwa v100, v158, v106 dst_sel:DWORD dst_unused:UNUSED_PAD src0_sel:BYTE_0 src1_sel:DWORD
	ds_write_b128 v12, v[72:75]
	ds_write_b128 v12, v[60:63] offset:80
	ds_write_b128 v12, v[56:59] offset:160
	;; [unrolled: 1-line block ×4, first 2 shown]
	v_mad_legacy_u16 v8, v148, 25, v149
	v_lshrrev_b16_e32 v166, 10, v100
	v_lshlrev_b32_e32 v8, 4, v8
	v_mul_lo_u16_e32 v100, 25, v166
	ds_write_b128 v8, v[28:31]
	ds_write_b128 v8, v[24:27] offset:80
	ds_write_b128 v8, v[32:35] offset:160
	ds_write_b128 v8, v[4:7] offset:240
	ds_write_b128 v8, v[20:23] offset:320
	v_mad_legacy_u16 v4, v150, 25, v151
	v_sub_u16_e32 v100, v158, v100
	v_fmac_f64_e32 v[50:51], s[4:5], v[104:105]
	v_fmac_f64_e32 v[2:3], s[4:5], v[104:105]
	v_lshlrev_b32_e32 v4, 4, v4
	v_and_b32_e32 v167, 0xff, v100
	v_accvgpr_write_b32 a255, v12
	v_accvgpr_write_b32 a254, v8
	buffer_store_dword v4, off, s[24:27], 0 offset:144 ; 4-byte Folded Spill
	ds_write_b128 v4, v[44:47]
	ds_write_b128 v4, v[40:43] offset:80
	ds_write_b128 v4, v[48:51] offset:160
	;; [unrolled: 1-line block ×4, first 2 shown]
	s_waitcnt lgkmcnt(0)
	s_barrier
	ds_read_b128 v[16:19], v243
	ds_read_b128 v[96:99], v243 offset:10000
	ds_read_b128 v[92:95], v243 offset:20000
	;; [unrolled: 1-line block ×24, first 2 shown]
	buffer_store_dword v172, off, s[24:27], 0 ; 4-byte Folded Spill
	v_lshlrev_b32_e32 v100, 6, v167
	global_load_dwordx4 v[110:113], v100, s[10:11] offset:368
	global_load_dwordx4 v[114:117], v100, s[10:11] offset:352
	;; [unrolled: 1-line block ×4, first 2 shown]
	s_waitcnt vmcnt(3)
	v_accvgpr_write_b32 a195, v113
	s_waitcnt vmcnt(2)
	v_accvgpr_write_b32 a199, v117
	;; [unrolled: 2-line block ×3, first 2 shown]
	s_waitcnt vmcnt(0) lgkmcnt(14)
	v_mul_f64 v[100:101], v[98:99], v[124:125]
	v_fma_f64 v[102:103], v[96:97], v[122:123], -v[100:101]
	v_mul_f64 v[100:101], v[96:97], v[124:125]
	v_mul_f64 v[96:97], v[94:95], v[120:121]
	v_fma_f64 v[104:105], v[92:93], v[118:119], -v[96:97]
	v_mul_f64 v[92:93], v[92:93], v[120:121]
	v_fmac_f64_e32 v[92:93], v[94:95], v[118:119]
	v_mul_f64 v[94:95], v[90:91], v[116:117]
	v_fma_f64 v[108:109], v[88:89], v[114:115], -v[94:95]
	v_mul_f64 v[94:95], v[88:89], v[116:117]
	v_mul_f64 v[88:89], v[86:87], v[112:113]
	v_fmac_f64_e32 v[94:95], v[90:91], v[114:115]
	v_fma_f64 v[90:91], v[84:85], v[110:111], -v[88:89]
	v_mul_f64 v[84:85], v[84:85], v[112:113]
	v_fmac_f64_e32 v[84:85], v[86:87], v[110:111]
	v_mul_lo_u16_sdwa v86, v186, v106 dst_sel:DWORD dst_unused:UNUSED_PAD src0_sel:BYTE_0 src1_sel:DWORD
	v_lshrrev_b16_e32 v164, 10, v86
	v_mul_lo_u16_e32 v86, 25, v164
	v_sub_u16_e32 v86, v186, v86
	v_and_b32_e32 v165, 0xff, v86
	v_lshlrev_b32_e32 v86, 6, v165
	v_fmac_f64_e32 v[100:101], v[98:99], v[122:123]
	v_accvgpr_write_b32 a202, v120
	v_accvgpr_write_b32 a201, v119
	;; [unrolled: 1-line block ×9, first 2 shown]
	global_load_dwordx4 v[96:99], v86, s[10:11] offset:368
	global_load_dwordx4 v[114:117], v86, s[10:11] offset:352
	;; [unrolled: 1-line block ×4, first 2 shown]
	v_accvgpr_write_b32 a191, v125
	v_accvgpr_write_b32 a190, v124
	;; [unrolled: 1-line block ×4, first 2 shown]
	s_waitcnt vmcnt(3)
	v_accvgpr_write_b32 a221, v99
	s_waitcnt vmcnt(2)
	v_accvgpr_write_b32 a217, v117
	v_accvgpr_write_b32 a216, v116
	s_waitcnt vmcnt(0)
	v_mul_f64 v[86:87], v[82:83], v[120:121]
	v_mul_f64 v[106:107], v[80:81], v[120:121]
	v_accvgpr_write_b32 a207, v121
	v_fma_f64 v[86:87], v[80:81], v[118:119], -v[86:87]
	v_fmac_f64_e32 v[106:107], v[82:83], v[118:119]
	v_accvgpr_write_b32 a206, v120
	v_accvgpr_write_b32 a205, v119
	;; [unrolled: 1-line block ×3, first 2 shown]
	v_pk_mov_b32 v[120:121], v[112:113], v[112:113] op_sel:[0,1]
	v_pk_mov_b32 v[118:119], v[110:111], v[110:111] op_sel:[0,1]
	v_mul_f64 v[80:81], v[78:79], v[120:121]
	v_fma_f64 v[112:113], v[76:77], v[118:119], -v[80:81]
	v_mul_f64 v[110:111], v[76:77], v[120:121]
	v_mul_f64 v[76:77], v[74:75], v[116:117]
	v_fmac_f64_e32 v[110:111], v[78:79], v[118:119]
	v_fma_f64 v[78:79], v[72:73], v[114:115], -v[76:77]
	v_mul_f64 v[72:73], v[72:73], v[116:117]
	v_fmac_f64_e32 v[72:73], v[74:75], v[114:115]
	v_mul_f64 v[74:75], v[70:71], v[98:99]
	v_accvgpr_write_b32 a215, v115
	v_accvgpr_write_b32 a214, v114
	v_fma_f64 v[116:117], v[68:69], v[96:97], -v[74:75]
	v_mul_f64 v[74:75], v[68:69], v[98:99]
	v_mul_u32_u24_sdwa v68, v187, s18 dst_sel:DWORD dst_unused:UNUSED_PAD src0_sel:WORD_0 src1_sel:DWORD
	v_sub_u16_sdwa v69, v187, v68 dst_sel:DWORD dst_unused:UNUSED_PAD src0_sel:DWORD src1_sel:WORD_1
	v_lshrrev_b16_e32 v69, 1, v69
	v_add_u16_sdwa v68, v69, v68 dst_sel:DWORD dst_unused:UNUSED_PAD src0_sel:DWORD src1_sel:WORD_1
	v_lshrrev_b16_e32 v158, 4, v68
	v_mul_lo_u16_e32 v68, 25, v158
	v_sub_u16_e32 v159, v187, v68
	v_lshlrev_b16_e32 v68, 6, v159
	v_add_co_u32_e32 v68, vcc, s10, v68
	v_addc_co_u32_e32 v69, vcc, 0, v160, vcc
	v_fmac_f64_e32 v[74:75], v[70:71], v[96:97]
	v_accvgpr_write_b32 a220, v98
	v_accvgpr_write_b32 a219, v97
	;; [unrolled: 1-line block ×3, first 2 shown]
	global_load_dwordx4 v[80:83], v[68:69], off offset:368
	global_load_dwordx4 v[96:99], v[68:69], off offset:352
	;; [unrolled: 1-line block ×4, first 2 shown]
	v_accvgpr_write_b32 a213, v121
	v_accvgpr_write_b32 a212, v120
	;; [unrolled: 1-line block ×4, first 2 shown]
	s_waitcnt vmcnt(3)
	v_accvgpr_write_b32 a237, v83
	v_accvgpr_write_b32 a236, v82
	;; [unrolled: 1-line block ×3, first 2 shown]
	s_waitcnt vmcnt(0) lgkmcnt(13)
	v_mul_f64 v[68:69], v[66:67], v[128:129]
	v_mul_f64 v[114:115], v[64:65], v[128:129]
	v_fma_f64 v[120:121], v[64:65], v[126:127], -v[68:69]
	v_fmac_f64_e32 v[114:115], v[66:67], v[126:127]
	v_pk_mov_b32 v[66:67], v[122:123], v[122:123] op_sel:[0,1]
	v_pk_mov_b32 v[68:69], v[124:125], v[124:125] op_sel:[0,1]
	s_waitcnt lgkmcnt(12)
	v_mul_f64 v[64:65], v[62:63], v[68:69]
	v_accvgpr_write_b32 a225, v129
	v_fma_f64 v[124:125], v[60:61], v[66:67], -v[64:65]
	v_mul_f64 v[118:119], v[60:61], v[68:69]
	s_waitcnt lgkmcnt(11)
	v_mul_f64 v[60:61], v[58:59], v[98:99]
	v_accvgpr_write_b32 a224, v128
	v_accvgpr_write_b32 a223, v127
	;; [unrolled: 1-line block ×3, first 2 shown]
	v_fma_f64 v[126:127], v[56:57], v[96:97], -v[60:61]
	v_mul_f64 v[122:123], v[56:57], v[98:99]
	s_waitcnt lgkmcnt(10)
	v_mul_f64 v[56:57], v[54:55], v[82:83]
	v_fmac_f64_e32 v[122:123], v[58:59], v[96:97]
	v_fma_f64 v[58:59], v[52:53], v[80:81], -v[56:57]
	v_mul_f64 v[52:53], v[52:53], v[82:83]
	v_fmac_f64_e32 v[52:53], v[54:55], v[80:81]
	v_mul_u32_u24_sdwa v54, v188, s18 dst_sel:DWORD dst_unused:UNUSED_PAD src0_sel:WORD_0 src1_sel:DWORD
	v_sub_u16_sdwa v55, v188, v54 dst_sel:DWORD dst_unused:UNUSED_PAD src0_sel:DWORD src1_sel:WORD_1
	v_lshrrev_b16_e32 v55, 1, v55
	v_add_u16_sdwa v54, v55, v54 dst_sel:DWORD dst_unused:UNUSED_PAD src0_sel:DWORD src1_sel:WORD_1
	v_lshrrev_b16_e32 v156, 4, v54
	v_mul_lo_u16_e32 v54, 25, v156
	v_sub_u16_e32 v157, v188, v54
	v_lshlrev_b16_e32 v54, 6, v157
	v_add_co_u32_e32 v54, vcc, s10, v54
	v_accvgpr_write_b32 a229, v69
	v_addc_co_u32_e32 v55, vcc, 0, v160, vcc
	v_fmac_f64_e32 v[118:119], v[62:63], v[66:67]
	v_accvgpr_write_b32 a228, v68
	v_accvgpr_write_b32 a227, v67
	;; [unrolled: 1-line block ×4, first 2 shown]
	global_load_dwordx4 v[60:63], v[54:55], off offset:368
	global_load_dwordx4 v[64:67], v[54:55], off offset:352
	;; [unrolled: 1-line block ×4, first 2 shown]
	v_accvgpr_write_b32 a233, v99
	v_accvgpr_write_b32 a232, v98
	;; [unrolled: 1-line block ×4, first 2 shown]
	s_waitcnt vmcnt(3)
	v_accvgpr_write_b32 a253, v63
	s_waitcnt vmcnt(2) lgkmcnt(6)
	v_mul_f64 v[134:135], v[40:41], v[66:67]
	s_waitcnt vmcnt(1)
	v_mul_f64 v[130:131], v[44:45], v[70:71]
	s_waitcnt vmcnt(0)
	v_mul_f64 v[54:55], v[50:51], v[82:83]
	v_fma_f64 v[132:133], v[48:49], v[80:81], -v[54:55]
	v_mul_f64 v[128:129], v[48:49], v[82:83]
	v_mul_f64 v[48:49], v[46:47], v[70:71]
	v_fma_f64 v[136:137], v[44:45], v[68:69], -v[48:49]
	v_mul_f64 v[44:45], v[42:43], v[66:67]
	v_fma_f64 v[138:139], v[40:41], v[64:65], -v[44:45]
	s_waitcnt lgkmcnt(5)
	v_mul_f64 v[40:41], v[38:39], v[62:63]
	v_fmac_f64_e32 v[134:135], v[42:43], v[64:65]
	v_fma_f64 v[42:43], v[36:37], v[60:61], -v[40:41]
	v_mul_f64 v[36:37], v[36:37], v[62:63]
	v_fmac_f64_e32 v[36:37], v[38:39], v[60:61]
	v_mul_u32_u24_sdwa v38, v163, s18 dst_sel:DWORD dst_unused:UNUSED_PAD src0_sel:WORD_0 src1_sel:DWORD
	v_sub_u16_sdwa v39, v163, v38 dst_sel:DWORD dst_unused:UNUSED_PAD src0_sel:DWORD src1_sel:WORD_1
	v_lshrrev_b16_e32 v39, 1, v39
	v_add_u16_sdwa v38, v39, v38 dst_sel:DWORD dst_unused:UNUSED_PAD src0_sel:DWORD src1_sel:WORD_1
	v_lshrrev_b16_e32 v154, 4, v38
	v_mul_lo_u16_e32 v38, 25, v154
	v_sub_u16_e32 v155, v163, v38
	v_lshlrev_b16_e32 v38, 6, v155
	v_add_co_u32_e32 v38, vcc, s10, v38
	v_addc_co_u32_e32 v39, vcc, 0, v160, vcc
	v_fmac_f64_e32 v[128:129], v[50:51], v[80:81]
	v_fmac_f64_e32 v[130:131], v[46:47], v[68:69]
	v_accvgpr_write_b32 a252, v62
	v_accvgpr_write_b32 a251, v61
	;; [unrolled: 1-line block ×3, first 2 shown]
	global_load_dwordx4 v[44:47], v[38:39], off offset:368
	global_load_dwordx4 v[48:51], v[38:39], off offset:352
	global_load_dwordx4 v[54:57], v[38:39], off offset:336
	global_load_dwordx4 v[60:63], v[38:39], off offset:320
	v_accvgpr_write_b32 a245, v71
	v_accvgpr_write_b32 a244, v70
	;; [unrolled: 1-line block ×12, first 2 shown]
	s_waitcnt lgkmcnt(0)
	s_barrier
	s_waitcnt vmcnt(3)
	v_mul_f64 v[150:151], v[20:21], v[46:47]
	s_waitcnt vmcnt(2)
	v_mul_f64 v[146:147], v[24:25], v[50:51]
	s_waitcnt vmcnt(1)
	v_mul_f64 v[142:143], v[28:29], v[56:57]
	s_waitcnt vmcnt(0)
	v_mul_f64 v[38:39], v[34:35], v[62:63]
	v_fma_f64 v[144:145], v[32:33], v[60:61], -v[38:39]
	v_mul_f64 v[140:141], v[32:33], v[62:63]
	v_mul_f64 v[32:33], v[30:31], v[56:57]
	v_fma_f64 v[148:149], v[28:29], v[54:55], -v[32:33]
	v_mul_f64 v[28:29], v[26:27], v[50:51]
	v_fma_f64 v[152:153], v[24:25], v[48:49], -v[28:29]
	v_mul_f64 v[24:25], v[22:23], v[46:47]
	v_fmac_f64_e32 v[146:147], v[26:27], v[48:49]
	v_fma_f64 v[26:27], v[20:21], v[44:45], -v[24:25]
	v_add_f64 v[20:21], v[16:17], v[102:103]
	v_add_f64 v[20:21], v[20:21], v[104:105]
	;; [unrolled: 1-line block ×5, first 2 shown]
	v_fma_f64 v[68:69], -0.5, v[20:21], v[16:17]
	v_add_f64 v[20:21], v[100:101], -v[84:85]
	v_fmac_f64_e32 v[150:151], v[22:23], v[44:45]
	v_fma_f64 v[88:89], s[2:3], v[20:21], v[68:69]
	v_add_f64 v[22:23], v[92:93], -v[94:95]
	v_add_f64 v[24:25], v[102:103], -v[104:105]
	v_add_f64 v[28:29], v[90:91], -v[108:109]
	v_fmac_f64_e32 v[68:69], s[14:15], v[20:21]
	v_fmac_f64_e32 v[88:89], s[6:7], v[22:23]
	v_add_f64 v[24:25], v[24:25], v[28:29]
	v_fmac_f64_e32 v[68:69], s[8:9], v[22:23]
	v_fmac_f64_e32 v[88:89], s[4:5], v[24:25]
	v_fmac_f64_e32 v[68:69], s[4:5], v[24:25]
	v_add_f64 v[24:25], v[102:103], v[90:91]
	v_fmac_f64_e32 v[16:17], -0.5, v[24:25]
	v_fma_f64 v[80:81], s[14:15], v[22:23], v[16:17]
	v_fmac_f64_e32 v[16:17], s[2:3], v[22:23]
	v_fmac_f64_e32 v[80:81], s[6:7], v[20:21]
	v_fmac_f64_e32 v[16:17], s[8:9], v[20:21]
	v_add_f64 v[20:21], v[18:19], v[100:101]
	v_add_f64 v[20:21], v[20:21], v[92:93]
	v_add_f64 v[20:21], v[20:21], v[94:95]
	v_add_f64 v[24:25], v[104:105], -v[102:103]
	v_add_f64 v[28:29], v[108:109], -v[90:91]
	v_add_f64 v[98:99], v[20:21], v[84:85]
	v_add_f64 v[20:21], v[92:93], v[94:95]
	v_add_f64 v[24:25], v[24:25], v[28:29]
	v_fma_f64 v[70:71], -0.5, v[20:21], v[18:19]
	v_add_f64 v[20:21], v[102:103], -v[90:91]
	v_fmac_f64_e32 v[80:81], s[4:5], v[24:25]
	v_fmac_f64_e32 v[16:17], s[4:5], v[24:25]
	v_fma_f64 v[90:91], s[14:15], v[20:21], v[70:71]
	v_add_f64 v[22:23], v[104:105], -v[108:109]
	v_add_f64 v[24:25], v[100:101], -v[92:93]
	v_add_f64 v[28:29], v[84:85], -v[94:95]
	v_fmac_f64_e32 v[70:71], s[2:3], v[20:21]
	v_fmac_f64_e32 v[90:91], s[8:9], v[22:23]
	v_add_f64 v[24:25], v[24:25], v[28:29]
	v_fmac_f64_e32 v[70:71], s[6:7], v[22:23]
	v_fmac_f64_e32 v[90:91], s[4:5], v[24:25]
	v_fmac_f64_e32 v[70:71], s[4:5], v[24:25]
	v_add_f64 v[24:25], v[100:101], v[84:85]
	v_fmac_f64_e32 v[18:19], -0.5, v[24:25]
	v_fma_f64 v[82:83], s[2:3], v[22:23], v[18:19]
	v_fmac_f64_e32 v[18:19], s[14:15], v[22:23]
	v_fmac_f64_e32 v[82:83], s[8:9], v[20:21]
	v_fmac_f64_e32 v[18:19], s[6:7], v[20:21]
	v_add_f64 v[20:21], v[12:13], v[86:87]
	v_add_f64 v[20:21], v[20:21], v[112:113]
	v_add_f64 v[20:21], v[20:21], v[78:79]
	v_add_f64 v[24:25], v[92:93], -v[100:101]
	v_add_f64 v[28:29], v[94:95], -v[84:85]
	v_add_f64 v[92:93], v[20:21], v[116:117]
	v_add_f64 v[20:21], v[112:113], v[78:79]
	v_add_f64 v[24:25], v[24:25], v[28:29]
	v_fma_f64 v[64:65], -0.5, v[20:21], v[12:13]
	v_add_f64 v[20:21], v[106:107], -v[74:75]
	v_fmac_f64_e32 v[82:83], s[4:5], v[24:25]
	;; [unrolled: 28-line block ×3, first 2 shown]
	v_fmac_f64_e32 v[12:13], s[4:5], v[24:25]
	v_fma_f64 v[86:87], s[14:15], v[20:21], v[66:67]
	v_add_f64 v[22:23], v[112:113], -v[78:79]
	v_add_f64 v[24:25], v[106:107], -v[110:111]
	;; [unrolled: 1-line block ×3, first 2 shown]
	v_fmac_f64_e32 v[66:67], s[2:3], v[20:21]
	v_fmac_f64_e32 v[86:87], s[8:9], v[22:23]
	v_add_f64 v[24:25], v[24:25], v[28:29]
	v_fmac_f64_e32 v[66:67], s[6:7], v[22:23]
	v_fmac_f64_e32 v[86:87], s[4:5], v[24:25]
	;; [unrolled: 1-line block ×3, first 2 shown]
	v_add_f64 v[24:25], v[106:107], v[74:75]
	v_fmac_f64_e32 v[14:15], -0.5, v[24:25]
	v_fma_f64 v[78:79], s[2:3], v[22:23], v[14:15]
	v_fmac_f64_e32 v[14:15], s[14:15], v[22:23]
	v_fmac_f64_e32 v[78:79], s[8:9], v[20:21]
	;; [unrolled: 1-line block ×3, first 2 shown]
	v_add_f64 v[20:21], v[8:9], v[120:121]
	v_add_f64 v[20:21], v[20:21], v[124:125]
	;; [unrolled: 1-line block ×3, first 2 shown]
	v_accvgpr_write_b32 a44, v48
	v_add_f64 v[24:25], v[110:111], -v[106:107]
	v_add_f64 v[28:29], v[72:73], -v[74:75]
	v_add_f64 v[72:73], v[20:21], v[58:59]
	v_add_f64 v[20:21], v[124:125], v[126:127]
	v_accvgpr_write_b32 a187, v63
	v_accvgpr_write_b32 a45, v49
	;; [unrolled: 1-line block ×4, first 2 shown]
	v_add_f64 v[24:25], v[24:25], v[28:29]
	v_fma_f64 v[48:49], -0.5, v[20:21], v[8:9]
	v_add_f64 v[20:21], v[114:115], -v[52:53]
	v_fmac_f64_e32 v[140:141], v[34:35], v[60:61]
	v_accvgpr_write_b32 a186, v62
	v_accvgpr_write_b32 a185, v61
	;; [unrolled: 1-line block ×3, first 2 shown]
	v_fmac_f64_e32 v[78:79], s[4:5], v[24:25]
	v_fmac_f64_e32 v[14:15], s[4:5], v[24:25]
	v_fma_f64 v[60:61], s[2:3], v[20:21], v[48:49]
	v_add_f64 v[22:23], v[118:119], -v[122:123]
	v_add_f64 v[24:25], v[120:121], -v[124:125]
	v_add_f64 v[28:29], v[58:59], -v[126:127]
	v_fmac_f64_e32 v[48:49], s[14:15], v[20:21]
	v_fmac_f64_e32 v[60:61], s[6:7], v[22:23]
	v_add_f64 v[24:25], v[24:25], v[28:29]
	v_fmac_f64_e32 v[48:49], s[8:9], v[22:23]
	v_fmac_f64_e32 v[60:61], s[4:5], v[24:25]
	;; [unrolled: 1-line block ×3, first 2 shown]
	v_add_f64 v[24:25], v[120:121], v[58:59]
	v_accvgpr_write_b32 a48, v54
	v_fmac_f64_e32 v[8:9], -0.5, v[24:25]
	v_accvgpr_write_b32 a49, v55
	v_accvgpr_write_b32 a50, v56
	;; [unrolled: 1-line block ×3, first 2 shown]
	v_fma_f64 v[56:57], s[14:15], v[22:23], v[8:9]
	v_fmac_f64_e32 v[8:9], s[2:3], v[22:23]
	v_fmac_f64_e32 v[56:57], s[6:7], v[20:21]
	;; [unrolled: 1-line block ×3, first 2 shown]
	v_add_f64 v[20:21], v[10:11], v[114:115]
	v_add_f64 v[20:21], v[20:21], v[118:119]
	;; [unrolled: 1-line block ×3, first 2 shown]
	v_add_f64 v[24:25], v[124:125], -v[120:121]
	v_add_f64 v[28:29], v[126:127], -v[58:59]
	v_add_f64 v[74:75], v[20:21], v[52:53]
	v_add_f64 v[20:21], v[118:119], v[122:123]
	;; [unrolled: 1-line block ×3, first 2 shown]
	v_fma_f64 v[50:51], -0.5, v[20:21], v[10:11]
	v_add_f64 v[20:21], v[120:121], -v[58:59]
	v_fmac_f64_e32 v[56:57], s[4:5], v[24:25]
	v_fmac_f64_e32 v[8:9], s[4:5], v[24:25]
	v_fma_f64 v[62:63], s[14:15], v[20:21], v[50:51]
	v_add_f64 v[22:23], v[124:125], -v[126:127]
	v_add_f64 v[24:25], v[114:115], -v[118:119]
	;; [unrolled: 1-line block ×3, first 2 shown]
	v_fmac_f64_e32 v[50:51], s[2:3], v[20:21]
	v_fmac_f64_e32 v[62:63], s[8:9], v[22:23]
	v_add_f64 v[24:25], v[24:25], v[28:29]
	v_fmac_f64_e32 v[50:51], s[6:7], v[22:23]
	v_fmac_f64_e32 v[62:63], s[4:5], v[24:25]
	;; [unrolled: 1-line block ×3, first 2 shown]
	v_add_f64 v[24:25], v[114:115], v[52:53]
	v_fmac_f64_e32 v[10:11], -0.5, v[24:25]
	v_fma_f64 v[58:59], s[2:3], v[22:23], v[10:11]
	v_fmac_f64_e32 v[10:11], s[14:15], v[22:23]
	v_fmac_f64_e32 v[58:59], s[8:9], v[20:21]
	;; [unrolled: 1-line block ×3, first 2 shown]
	v_add_f64 v[20:21], v[4:5], v[132:133]
	v_add_f64 v[20:21], v[20:21], v[136:137]
	;; [unrolled: 1-line block ×3, first 2 shown]
	v_add_f64 v[24:25], v[118:119], -v[114:115]
	v_add_f64 v[28:29], v[122:123], -v[52:53]
	v_add_f64 v[52:53], v[20:21], v[42:43]
	v_add_f64 v[20:21], v[136:137], v[138:139]
	v_accvgpr_write_b32 a40, v44
	v_add_f64 v[24:25], v[24:25], v[28:29]
	v_fma_f64 v[32:33], -0.5, v[20:21], v[4:5]
	v_add_f64 v[20:21], v[128:129], -v[36:37]
	v_accvgpr_write_b32 a41, v45
	v_accvgpr_write_b32 a42, v46
	;; [unrolled: 1-line block ×3, first 2 shown]
	v_fmac_f64_e32 v[58:59], s[4:5], v[24:25]
	v_fmac_f64_e32 v[10:11], s[4:5], v[24:25]
	v_fma_f64 v[44:45], s[2:3], v[20:21], v[32:33]
	v_add_f64 v[22:23], v[130:131], -v[134:135]
	v_add_f64 v[24:25], v[132:133], -v[136:137]
	v_add_f64 v[28:29], v[42:43], -v[138:139]
	v_fmac_f64_e32 v[32:33], s[14:15], v[20:21]
	v_fmac_f64_e32 v[44:45], s[6:7], v[22:23]
	v_add_f64 v[24:25], v[24:25], v[28:29]
	v_fmac_f64_e32 v[32:33], s[8:9], v[22:23]
	v_fmac_f64_e32 v[44:45], s[4:5], v[24:25]
	;; [unrolled: 1-line block ×3, first 2 shown]
	v_add_f64 v[24:25], v[132:133], v[42:43]
	v_fmac_f64_e32 v[4:5], -0.5, v[24:25]
	v_fma_f64 v[40:41], s[14:15], v[22:23], v[4:5]
	v_fmac_f64_e32 v[4:5], s[2:3], v[22:23]
	v_fmac_f64_e32 v[40:41], s[6:7], v[20:21]
	;; [unrolled: 1-line block ×3, first 2 shown]
	v_add_f64 v[20:21], v[6:7], v[128:129]
	v_add_f64 v[20:21], v[20:21], v[130:131]
	;; [unrolled: 1-line block ×3, first 2 shown]
	v_fmac_f64_e32 v[142:143], v[30:31], v[54:55]
	v_add_f64 v[24:25], v[136:137], -v[132:133]
	v_add_f64 v[28:29], v[138:139], -v[42:43]
	v_add_f64 v[54:55], v[20:21], v[36:37]
	v_add_f64 v[20:21], v[130:131], v[134:135]
	;; [unrolled: 1-line block ×3, first 2 shown]
	v_fma_f64 v[34:35], -0.5, v[20:21], v[6:7]
	v_add_f64 v[20:21], v[132:133], -v[42:43]
	v_fmac_f64_e32 v[40:41], s[4:5], v[24:25]
	v_fmac_f64_e32 v[4:5], s[4:5], v[24:25]
	v_fma_f64 v[46:47], s[14:15], v[20:21], v[34:35]
	v_add_f64 v[22:23], v[136:137], -v[138:139]
	v_add_f64 v[24:25], v[128:129], -v[130:131]
	;; [unrolled: 1-line block ×3, first 2 shown]
	v_fmac_f64_e32 v[34:35], s[2:3], v[20:21]
	v_fmac_f64_e32 v[46:47], s[8:9], v[22:23]
	v_add_f64 v[24:25], v[24:25], v[28:29]
	v_fmac_f64_e32 v[34:35], s[6:7], v[22:23]
	v_fmac_f64_e32 v[46:47], s[4:5], v[24:25]
	;; [unrolled: 1-line block ×3, first 2 shown]
	v_add_f64 v[24:25], v[128:129], v[36:37]
	v_fmac_f64_e32 v[6:7], -0.5, v[24:25]
	v_fma_f64 v[42:43], s[2:3], v[22:23], v[6:7]
	v_fmac_f64_e32 v[6:7], s[14:15], v[22:23]
	v_fmac_f64_e32 v[42:43], s[8:9], v[20:21]
	;; [unrolled: 1-line block ×3, first 2 shown]
	v_add_f64 v[20:21], v[0:1], v[144:145]
	v_add_f64 v[20:21], v[20:21], v[148:149]
	;; [unrolled: 1-line block ×3, first 2 shown]
	v_add_f64 v[24:25], v[130:131], -v[128:129]
	v_add_f64 v[28:29], v[134:135], -v[36:37]
	v_add_f64 v[36:37], v[20:21], v[26:27]
	v_add_f64 v[20:21], v[148:149], v[152:153]
	v_add_f64 v[24:25], v[24:25], v[28:29]
	v_fma_f64 v[20:21], -0.5, v[20:21], v[0:1]
	v_add_f64 v[22:23], v[140:141], -v[150:151]
	v_fmac_f64_e32 v[42:43], s[4:5], v[24:25]
	v_fmac_f64_e32 v[6:7], s[4:5], v[24:25]
	v_fma_f64 v[28:29], s[2:3], v[22:23], v[20:21]
	v_add_f64 v[30:31], v[142:143], -v[146:147]
	v_add_f64 v[24:25], v[144:145], -v[148:149]
	;; [unrolled: 1-line block ×3, first 2 shown]
	v_fmac_f64_e32 v[20:21], s[14:15], v[22:23]
	v_fmac_f64_e32 v[28:29], s[6:7], v[30:31]
	v_add_f64 v[24:25], v[24:25], v[38:39]
	v_fmac_f64_e32 v[20:21], s[8:9], v[30:31]
	v_fmac_f64_e32 v[28:29], s[4:5], v[24:25]
	;; [unrolled: 1-line block ×3, first 2 shown]
	v_add_f64 v[24:25], v[144:145], v[26:27]
	v_fmac_f64_e32 v[0:1], -0.5, v[24:25]
	v_fma_f64 v[24:25], s[14:15], v[30:31], v[0:1]
	v_fmac_f64_e32 v[0:1], s[2:3], v[30:31]
	v_fmac_f64_e32 v[24:25], s[6:7], v[22:23]
	;; [unrolled: 1-line block ×3, first 2 shown]
	v_add_f64 v[22:23], v[2:3], v[140:141]
	v_add_f64 v[38:39], v[148:149], -v[144:145]
	v_add_f64 v[100:101], v[152:153], -v[26:27]
	v_add_f64 v[22:23], v[22:23], v[142:143]
	v_add_f64 v[38:39], v[38:39], v[100:101]
	;; [unrolled: 1-line block ×3, first 2 shown]
	v_fmac_f64_e32 v[24:25], s[4:5], v[38:39]
	v_fmac_f64_e32 v[0:1], s[4:5], v[38:39]
	v_add_f64 v[38:39], v[22:23], v[150:151]
	v_add_f64 v[22:23], v[142:143], v[146:147]
	v_fma_f64 v[22:23], -0.5, v[22:23], v[2:3]
	v_add_f64 v[100:101], v[144:145], -v[26:27]
	v_fma_f64 v[30:31], s[14:15], v[100:101], v[22:23]
	v_add_f64 v[102:103], v[148:149], -v[152:153]
	v_add_f64 v[26:27], v[140:141], -v[142:143]
	;; [unrolled: 1-line block ×3, first 2 shown]
	v_fmac_f64_e32 v[22:23], s[2:3], v[100:101]
	v_fmac_f64_e32 v[30:31], s[8:9], v[102:103]
	v_add_f64 v[26:27], v[26:27], v[104:105]
	v_fmac_f64_e32 v[22:23], s[6:7], v[102:103]
	v_fmac_f64_e32 v[30:31], s[4:5], v[26:27]
	v_fmac_f64_e32 v[22:23], s[4:5], v[26:27]
	v_add_f64 v[26:27], v[140:141], v[150:151]
	v_fmac_f64_e32 v[2:3], -0.5, v[26:27]
	v_fma_f64 v[26:27], s[2:3], v[102:103], v[2:3]
	v_fmac_f64_e32 v[2:3], s[14:15], v[102:103]
	v_fmac_f64_e32 v[26:27], s[8:9], v[100:101]
	;; [unrolled: 1-line block ×3, first 2 shown]
	v_mul_u32_u24_e32 v100, 0x7d, v166
	v_add_lshl_u32 v100, v100, v167, 4
	ds_write_b128 v100, v[96:99]
	ds_write_b128 v100, v[88:91] offset:400
	ds_write_b128 v100, v[80:83] offset:800
	;; [unrolled: 1-line block ×4, first 2 shown]
	v_mul_u32_u24_e32 v16, 0x7d, v164
	v_add_lshl_u32 v16, v16, v165, 4
	ds_write_b128 v16, v[92:95]
	ds_write_b128 v16, v[84:87] offset:400
	ds_write_b128 v16, v[76:79] offset:800
	;; [unrolled: 1-line block ×4, first 2 shown]
	v_mad_legacy_u16 v12, v158, s17, v159
	v_lshlrev_b32_e32 v12, 4, v12
	ds_write_b128 v12, v[72:75]
	ds_write_b128 v12, v[60:63] offset:400
	ds_write_b128 v12, v[56:59] offset:800
	ds_write_b128 v12, v[8:11] offset:1200
	ds_write_b128 v12, v[48:51] offset:1600
	v_mad_legacy_u16 v8, v156, s17, v157
	v_add_f64 v[104:105], v[142:143], -v[140:141]
	v_add_f64 v[106:107], v[146:147], -v[150:151]
	v_lshlrev_b32_e32 v8, 4, v8
	v_add_f64 v[104:105], v[104:105], v[106:107]
	ds_write_b128 v8, v[52:55]
	ds_write_b128 v8, v[44:47] offset:400
	ds_write_b128 v8, v[40:43] offset:800
	;; [unrolled: 1-line block ×4, first 2 shown]
	v_mad_legacy_u16 v4, v154, s17, v155
	v_fmac_f64_e32 v[26:27], s[4:5], v[104:105]
	v_fmac_f64_e32 v[2:3], s[4:5], v[104:105]
	v_accvgpr_write_b32 a208, v100
	v_lshlrev_b32_e32 v4, 4, v4
	v_lshlrev_b32_e32 v100, 6, v172
	v_accvgpr_write_b32 a155, v16
	v_accvgpr_write_b32 a154, v12
	;; [unrolled: 1-line block ×3, first 2 shown]
	ds_write_b128 v4, v[36:39]
	ds_write_b128 v4, v[28:31] offset:400
	ds_write_b128 v4, v[24:27] offset:800
	;; [unrolled: 1-line block ×4, first 2 shown]
	v_accvgpr_write_b32 a120, v4
	s_waitcnt lgkmcnt(0)
	s_barrier
	ds_read_b128 v[16:19], v243
	ds_read_b128 v[96:99], v243 offset:10000
	ds_read_b128 v[92:95], v243 offset:20000
	;; [unrolled: 1-line block ×24, first 2 shown]
	global_load_dwordx4 v[244:247], v100, s[10:11] offset:1968
	global_load_dwordx4 v[182:185], v100, s[10:11] offset:1952
	;; [unrolled: 1-line block ×4, first 2 shown]
	v_add_co_u32_e32 v122, vcc, s10, v100
	s_movk_i32 s11, 0x625
	v_addc_co_u32_e32 v123, vcc, 0, v160, vcc
	s_waitcnt vmcnt(2) lgkmcnt(14)
	v_mul_f64 v[104:105], v[72:73], v[184:185]
	s_waitcnt vmcnt(1)
	v_mul_f64 v[110:111], v[92:93], v[180:181]
	s_waitcnt vmcnt(0)
	v_mul_f64 v[100:101], v[98:99], v[142:143]
	v_fma_f64 v[112:113], v[96:97], v[140:141], -v[100:101]
	v_mul_f64 v[96:97], v[96:97], v[142:143]
	v_fmac_f64_e32 v[96:97], v[98:99], v[140:141]
	v_mul_f64 v[98:99], v[94:95], v[180:181]
	v_fma_f64 v[114:115], v[92:93], v[178:179], -v[98:99]
	v_mul_f64 v[92:93], v[90:91], v[184:185]
	v_fma_f64 v[146:147], v[88:89], v[182:183], -v[92:93]
	v_mul_f64 v[88:89], v[88:89], v[184:185]
	v_fmac_f64_e32 v[88:89], v[90:91], v[182:183]
	v_mul_f64 v[90:91], v[86:87], v[246:247]
	v_fma_f64 v[152:153], v[84:85], v[244:245], -v[90:91]
	v_mul_f64 v[90:91], v[84:85], v[246:247]
	v_mul_f64 v[84:85], v[82:83], v[142:143]
	v_fma_f64 v[98:99], v[80:81], v[140:141], -v[84:85]
	v_mul_f64 v[100:101], v[80:81], v[142:143]
	;; [unrolled: 3-line block ×4, first 2 shown]
	v_fmac_f64_e32 v[104:105], v[74:75], v[182:183]
	v_fma_f64 v[74:75], v[68:69], v[244:245], -v[72:73]
	v_mul_f64 v[68:69], v[68:69], v[246:247]
	v_fmac_f64_e32 v[68:69], v[70:71], v[244:245]
	v_mul_u32_u24_sdwa v70, v187, s11 dst_sel:DWORD dst_unused:UNUSED_PAD src0_sel:WORD_0 src1_sel:DWORD
	v_sub_u16_sdwa v71, v187, v70 dst_sel:DWORD dst_unused:UNUSED_PAD src0_sel:DWORD src1_sel:WORD_1
	v_lshrrev_b16_e32 v71, 1, v71
	v_add_u16_sdwa v70, v71, v70 dst_sel:DWORD dst_unused:UNUSED_PAD src0_sel:DWORD src1_sel:WORD_1
	v_lshrrev_b16_e32 v70, 6, v70
	v_mul_lo_u16_e32 v70, 0x7d, v70
	v_sub_u16_e32 v132, v187, v70
	v_lshlrev_b16_e32 v70, 6, v132
	v_add_co_u32_e32 v70, vcc, s10, v70
	v_addc_co_u32_e32 v71, vcc, 0, v160, vcc
	v_fmac_f64_e32 v[110:111], v[94:95], v[178:179]
	v_fmac_f64_e32 v[90:91], v[86:87], v[244:245]
	v_fmac_f64_e32 v[100:101], v[82:83], v[140:141]
	v_fmac_f64_e32 v[102:103], v[78:79], v[178:179]
	global_load_dwordx4 v[76:79], v[70:71], off offset:1968
	global_load_dwordx4 v[80:83], v[70:71], off offset:1952
	;; [unrolled: 1-line block ×4, first 2 shown]
	s_waitcnt vmcnt(3) lgkmcnt(10)
	v_mul_f64 v[148:149], v[52:53], v[78:79]
	s_waitcnt vmcnt(2)
	v_mul_f64 v[130:131], v[56:57], v[82:83]
	v_fmac_f64_e32 v[130:131], v[58:59], v[80:81]
	s_waitcnt vmcnt(0)
	v_mul_f64 v[70:71], v[66:67], v[94:95]
	v_fma_f64 v[128:129], v[64:65], v[92:93], -v[70:71]
	v_mul_f64 v[64:65], v[64:65], v[94:95]
	v_fmac_f64_e32 v[64:65], v[66:67], v[92:93]
	v_mul_f64 v[66:67], v[62:63], v[86:87]
	v_fma_f64 v[144:145], v[60:61], v[84:85], -v[66:67]
	v_mul_f64 v[66:67], v[60:61], v[86:87]
	v_mul_f64 v[60:61], v[58:59], v[82:83]
	v_fma_f64 v[150:151], v[56:57], v[80:81], -v[60:61]
	v_mul_f64 v[56:57], v[54:55], v[78:79]
	v_fma_f64 v[58:59], v[52:53], v[76:77], -v[56:57]
	v_mul_u32_u24_sdwa v52, v188, s11 dst_sel:DWORD dst_unused:UNUSED_PAD src0_sel:WORD_0 src1_sel:DWORD
	v_sub_u16_sdwa v53, v188, v52 dst_sel:DWORD dst_unused:UNUSED_PAD src0_sel:DWORD src1_sel:WORD_1
	v_lshrrev_b16_e32 v53, 1, v53
	v_add_u16_sdwa v52, v53, v52 dst_sel:DWORD dst_unused:UNUSED_PAD src0_sel:DWORD src1_sel:WORD_1
	v_lshrrev_b16_e32 v52, 6, v52
	v_mul_lo_u16_e32 v52, 0x7d, v52
	v_sub_u16_e32 v125, v188, v52
	v_lshlrev_b16_e32 v52, 6, v125
	v_add_co_u32_e32 v52, vcc, s10, v52
	v_accvgpr_write_b32 a24, v76
	v_addc_co_u32_e32 v53, vcc, 0, v160, vcc
	v_fmac_f64_e32 v[66:67], v[62:63], v[84:85]
	v_fmac_f64_e32 v[148:149], v[54:55], v[76:77]
	v_accvgpr_write_b32 a25, v77
	v_accvgpr_write_b32 a26, v78
	;; [unrolled: 1-line block ×3, first 2 shown]
	global_load_dwordx4 v[54:57], v[52:53], off offset:1968
	global_load_dwordx4 v[60:63], v[52:53], off offset:1952
	;; [unrolled: 1-line block ×4, first 2 shown]
	v_accvgpr_write_b32 a36, v92
	v_accvgpr_write_b32 a37, v93
	;; [unrolled: 1-line block ×12, first 2 shown]
	s_waitcnt vmcnt(3) lgkmcnt(5)
	v_mul_f64 v[164:165], v[36:37], v[56:57]
	s_waitcnt vmcnt(2)
	v_mul_f64 v[156:157], v[40:41], v[62:63]
	v_fmac_f64_e32 v[156:157], v[42:43], v[60:61]
	s_waitcnt vmcnt(0)
	v_mul_f64 v[52:53], v[50:51], v[78:79]
	v_fma_f64 v[154:155], v[48:49], v[76:77], -v[52:53]
	v_mul_f64 v[48:49], v[48:49], v[78:79]
	v_fmac_f64_e32 v[48:49], v[50:51], v[76:77]
	v_mul_f64 v[50:51], v[46:47], v[72:73]
	v_fma_f64 v[158:159], v[44:45], v[70:71], -v[50:51]
	v_mul_f64 v[50:51], v[44:45], v[72:73]
	v_mul_f64 v[44:45], v[42:43], v[62:63]
	v_fma_f64 v[166:167], v[40:41], v[60:61], -v[44:45]
	v_mul_f64 v[40:41], v[38:39], v[56:57]
	v_fma_f64 v[42:43], v[36:37], v[54:55], -v[40:41]
	v_mul_u32_u24_sdwa v36, v163, s11 dst_sel:DWORD dst_unused:UNUSED_PAD src0_sel:WORD_0 src1_sel:DWORD
	v_sub_u16_sdwa v37, v163, v36 dst_sel:DWORD dst_unused:UNUSED_PAD src0_sel:DWORD src1_sel:WORD_1
	v_lshrrev_b16_e32 v37, 1, v37
	v_add_u16_sdwa v36, v37, v36 dst_sel:DWORD dst_unused:UNUSED_PAD src0_sel:DWORD src1_sel:WORD_1
	v_lshrrev_b16_e32 v36, 6, v36
	v_mul_lo_u16_e32 v36, 0x7d, v36
	v_sub_u16_e32 v124, v163, v36
	v_lshlrev_b16_e32 v36, 6, v124
	v_add_co_u32_e32 v36, vcc, s10, v36
	v_addc_co_u32_e32 v37, vcc, 0, v160, vcc
	v_fmac_f64_e32 v[50:51], v[46:47], v[70:71]
	v_fmac_f64_e32 v[164:165], v[38:39], v[54:55]
	global_load_dwordx4 v[38:41], v[36:37], off offset:1968
	global_load_dwordx4 v[252:255], v[36:37], off offset:1952
	;; [unrolled: 1-line block ×4, first 2 shown]
	v_accvgpr_write_b32 a20, v76
	v_accvgpr_write_b32 a21, v77
	;; [unrolled: 1-line block ×16, first 2 shown]
	s_waitcnt lgkmcnt(0)
	s_barrier
	s_movk_i32 s11, 0x26c0
	s_waitcnt vmcnt(3)
	v_mul_f64 v[126:127], v[20:21], v[40:41]
	s_waitcnt vmcnt(2)
	v_mul_f64 v[118:119], v[24:25], v[254:255]
	;; [unrolled: 2-line block ×4, first 2 shown]
	v_fma_f64 v[116:117], v[32:33], v[44:45], -v[36:37]
	v_mul_f64 v[172:173], v[32:33], v[46:47]
	v_mul_f64 v[32:33], v[30:31], v[228:229]
	v_fma_f64 v[120:121], v[28:29], v[226:227], -v[32:33]
	v_mul_f64 v[28:29], v[26:27], v[254:255]
	v_fma_f64 v[176:177], v[24:25], v[252:253], -v[28:29]
	v_mul_f64 v[24:25], v[22:23], v[40:41]
	v_fmac_f64_e32 v[118:119], v[26:27], v[252:253]
	v_fma_f64 v[26:27], v[20:21], v[38:39], -v[24:25]
	v_add_f64 v[20:21], v[16:17], v[112:113]
	v_add_f64 v[20:21], v[20:21], v[114:115]
	;; [unrolled: 1-line block ×5, first 2 shown]
	v_fma_f64 v[80:81], -0.5, v[20:21], v[16:17]
	v_add_f64 v[20:21], v[96:97], -v[90:91]
	v_fmac_f64_e32 v[126:127], v[22:23], v[38:39]
	v_fma_f64 v[84:85], s[2:3], v[20:21], v[80:81]
	v_add_f64 v[22:23], v[110:111], -v[88:89]
	v_add_f64 v[24:25], v[112:113], -v[114:115]
	v_add_f64 v[28:29], v[152:153], -v[146:147]
	v_fmac_f64_e32 v[80:81], s[14:15], v[20:21]
	v_fmac_f64_e32 v[84:85], s[6:7], v[22:23]
	v_add_f64 v[24:25], v[24:25], v[28:29]
	v_fmac_f64_e32 v[80:81], s[8:9], v[22:23]
	v_fmac_f64_e32 v[84:85], s[4:5], v[24:25]
	v_fmac_f64_e32 v[80:81], s[4:5], v[24:25]
	v_add_f64 v[24:25], v[112:113], v[152:153]
	v_fmac_f64_e32 v[16:17], -0.5, v[24:25]
	v_fma_f64 v[76:77], s[14:15], v[22:23], v[16:17]
	v_fmac_f64_e32 v[16:17], s[2:3], v[22:23]
	v_fmac_f64_e32 v[76:77], s[6:7], v[20:21]
	v_fmac_f64_e32 v[16:17], s[8:9], v[20:21]
	v_add_f64 v[20:21], v[18:19], v[96:97]
	v_add_f64 v[20:21], v[20:21], v[110:111]
	v_add_f64 v[20:21], v[20:21], v[88:89]
	v_add_f64 v[24:25], v[114:115], -v[112:113]
	v_add_f64 v[28:29], v[146:147], -v[152:153]
	v_add_f64 v[94:95], v[20:21], v[90:91]
	v_add_f64 v[20:21], v[110:111], v[88:89]
	v_add_f64 v[24:25], v[24:25], v[28:29]
	v_fma_f64 v[82:83], -0.5, v[20:21], v[18:19]
	v_add_f64 v[20:21], v[112:113], -v[152:153]
	v_fmac_f64_e32 v[76:77], s[4:5], v[24:25]
	v_fmac_f64_e32 v[16:17], s[4:5], v[24:25]
	v_fma_f64 v[86:87], s[14:15], v[20:21], v[82:83]
	v_add_f64 v[22:23], v[114:115], -v[146:147]
	v_add_f64 v[24:25], v[96:97], -v[110:111]
	v_add_f64 v[28:29], v[90:91], -v[88:89]
	v_fmac_f64_e32 v[82:83], s[2:3], v[20:21]
	v_fmac_f64_e32 v[86:87], s[8:9], v[22:23]
	v_add_f64 v[24:25], v[24:25], v[28:29]
	v_fmac_f64_e32 v[82:83], s[6:7], v[22:23]
	v_fmac_f64_e32 v[86:87], s[4:5], v[24:25]
	v_fmac_f64_e32 v[82:83], s[4:5], v[24:25]
	v_add_f64 v[24:25], v[96:97], v[90:91]
	v_fmac_f64_e32 v[18:19], -0.5, v[24:25]
	v_fma_f64 v[78:79], s[2:3], v[22:23], v[18:19]
	v_fmac_f64_e32 v[18:19], s[14:15], v[22:23]
	v_fmac_f64_e32 v[78:79], s[8:9], v[20:21]
	v_fmac_f64_e32 v[18:19], s[6:7], v[20:21]
	v_add_f64 v[20:21], v[12:13], v[98:99]
	v_add_f64 v[20:21], v[20:21], v[106:107]
	v_add_f64 v[20:21], v[20:21], v[108:109]
	v_add_f64 v[24:25], v[110:111], -v[96:97]
	v_add_f64 v[28:29], v[88:89], -v[90:91]
	v_add_f64 v[88:89], v[20:21], v[74:75]
	v_add_f64 v[20:21], v[106:107], v[108:109]
	v_add_f64 v[24:25], v[24:25], v[28:29]
	v_fma_f64 v[60:61], -0.5, v[20:21], v[12:13]
	v_add_f64 v[20:21], v[100:101], -v[68:69]
	v_fmac_f64_e32 v[78:79], s[4:5], v[24:25]
	;; [unrolled: 28-line block ×3, first 2 shown]
	v_fmac_f64_e32 v[12:13], s[4:5], v[24:25]
	v_fma_f64 v[98:99], s[14:15], v[20:21], v[62:63]
	v_add_f64 v[22:23], v[106:107], -v[108:109]
	v_add_f64 v[24:25], v[100:101], -v[102:103]
	;; [unrolled: 1-line block ×3, first 2 shown]
	v_fmac_f64_e32 v[62:63], s[2:3], v[20:21]
	v_fmac_f64_e32 v[98:99], s[8:9], v[22:23]
	v_add_f64 v[24:25], v[24:25], v[28:29]
	v_fmac_f64_e32 v[62:63], s[6:7], v[22:23]
	v_fmac_f64_e32 v[98:99], s[4:5], v[24:25]
	;; [unrolled: 1-line block ×3, first 2 shown]
	v_add_f64 v[24:25], v[100:101], v[68:69]
	v_fmac_f64_e32 v[14:15], -0.5, v[24:25]
	v_fma_f64 v[74:75], s[2:3], v[22:23], v[14:15]
	v_fmac_f64_e32 v[14:15], s[14:15], v[22:23]
	v_fmac_f64_e32 v[74:75], s[8:9], v[20:21]
	;; [unrolled: 1-line block ×3, first 2 shown]
	v_add_f64 v[20:21], v[8:9], v[128:129]
	v_add_f64 v[20:21], v[20:21], v[144:145]
	;; [unrolled: 1-line block ×3, first 2 shown]
	v_accvgpr_write_b32 a4, v44
	v_add_f64 v[24:25], v[102:103], -v[100:101]
	v_add_f64 v[28:29], v[104:105], -v[68:69]
	v_add_f64 v[68:69], v[20:21], v[58:59]
	v_add_f64 v[20:21], v[144:145], v[150:151]
	v_fmac_f64_e32 v[172:173], v[34:35], v[44:45]
	v_accvgpr_write_b32 a5, v45
	v_accvgpr_write_b32 a6, v46
	;; [unrolled: 1-line block ×3, first 2 shown]
	v_add_f64 v[24:25], v[24:25], v[28:29]
	v_fma_f64 v[44:45], -0.5, v[20:21], v[8:9]
	v_add_f64 v[20:21], v[64:65], -v[148:149]
	v_fmac_f64_e32 v[74:75], s[4:5], v[24:25]
	v_fmac_f64_e32 v[14:15], s[4:5], v[24:25]
	v_fma_f64 v[56:57], s[2:3], v[20:21], v[44:45]
	v_add_f64 v[22:23], v[66:67], -v[130:131]
	v_add_f64 v[24:25], v[128:129], -v[144:145]
	;; [unrolled: 1-line block ×3, first 2 shown]
	v_fmac_f64_e32 v[44:45], s[14:15], v[20:21]
	v_fmac_f64_e32 v[56:57], s[6:7], v[22:23]
	v_add_f64 v[24:25], v[24:25], v[28:29]
	v_fmac_f64_e32 v[44:45], s[8:9], v[22:23]
	v_fmac_f64_e32 v[56:57], s[4:5], v[24:25]
	;; [unrolled: 1-line block ×3, first 2 shown]
	v_add_f64 v[24:25], v[128:129], v[58:59]
	v_fmac_f64_e32 v[8:9], -0.5, v[24:25]
	v_fma_f64 v[52:53], s[14:15], v[22:23], v[8:9]
	v_fmac_f64_e32 v[8:9], s[2:3], v[22:23]
	v_fmac_f64_e32 v[52:53], s[6:7], v[20:21]
	;; [unrolled: 1-line block ×3, first 2 shown]
	v_add_f64 v[20:21], v[10:11], v[64:65]
	v_add_f64 v[20:21], v[20:21], v[66:67]
	;; [unrolled: 1-line block ×3, first 2 shown]
	v_add_f64 v[24:25], v[144:145], -v[128:129]
	v_add_f64 v[28:29], v[150:151], -v[58:59]
	v_add_f64 v[70:71], v[20:21], v[148:149]
	v_add_f64 v[20:21], v[66:67], v[130:131]
	v_add_f64 v[24:25], v[24:25], v[28:29]
	v_fma_f64 v[46:47], -0.5, v[20:21], v[10:11]
	v_add_f64 v[20:21], v[128:129], -v[58:59]
	v_fmac_f64_e32 v[52:53], s[4:5], v[24:25]
	v_fmac_f64_e32 v[8:9], s[4:5], v[24:25]
	v_fma_f64 v[58:59], s[14:15], v[20:21], v[46:47]
	v_add_f64 v[22:23], v[144:145], -v[150:151]
	v_add_f64 v[24:25], v[64:65], -v[66:67]
	;; [unrolled: 1-line block ×3, first 2 shown]
	v_fmac_f64_e32 v[46:47], s[2:3], v[20:21]
	v_fmac_f64_e32 v[58:59], s[8:9], v[22:23]
	v_add_f64 v[24:25], v[24:25], v[28:29]
	v_fmac_f64_e32 v[46:47], s[6:7], v[22:23]
	v_fmac_f64_e32 v[58:59], s[4:5], v[24:25]
	;; [unrolled: 1-line block ×3, first 2 shown]
	v_add_f64 v[24:25], v[64:65], v[148:149]
	v_fmac_f64_e32 v[10:11], -0.5, v[24:25]
	v_fma_f64 v[54:55], s[2:3], v[22:23], v[10:11]
	v_fmac_f64_e32 v[10:11], s[14:15], v[22:23]
	v_fmac_f64_e32 v[54:55], s[8:9], v[20:21]
	;; [unrolled: 1-line block ×3, first 2 shown]
	v_add_f64 v[20:21], v[4:5], v[154:155]
	v_add_f64 v[20:21], v[20:21], v[158:159]
	v_add_f64 v[20:21], v[20:21], v[166:167]
	v_add_f64 v[24:25], v[66:67], -v[64:65]
	v_add_f64 v[28:29], v[130:131], -v[148:149]
	v_add_f64 v[64:65], v[20:21], v[42:43]
	v_add_f64 v[20:21], v[158:159], v[166:167]
	v_accvgpr_write_b32 a0, v38
	v_add_f64 v[24:25], v[24:25], v[28:29]
	v_fma_f64 v[28:29], -0.5, v[20:21], v[4:5]
	v_add_f64 v[20:21], v[48:49], -v[164:165]
	v_fmac_f64_e32 v[174:175], v[30:31], v[226:227]
	v_accvgpr_write_b32 a1, v39
	v_accvgpr_write_b32 a2, v40
	;; [unrolled: 1-line block ×3, first 2 shown]
	v_fmac_f64_e32 v[54:55], s[4:5], v[24:25]
	v_fmac_f64_e32 v[10:11], s[4:5], v[24:25]
	v_fma_f64 v[40:41], s[2:3], v[20:21], v[28:29]
	v_add_f64 v[22:23], v[50:51], -v[156:157]
	v_add_f64 v[24:25], v[154:155], -v[158:159]
	;; [unrolled: 1-line block ×3, first 2 shown]
	v_fmac_f64_e32 v[28:29], s[14:15], v[20:21]
	v_fmac_f64_e32 v[40:41], s[6:7], v[22:23]
	v_add_f64 v[24:25], v[24:25], v[30:31]
	v_fmac_f64_e32 v[28:29], s[8:9], v[22:23]
	v_fmac_f64_e32 v[40:41], s[4:5], v[24:25]
	;; [unrolled: 1-line block ×3, first 2 shown]
	v_add_f64 v[24:25], v[154:155], v[42:43]
	v_fmac_f64_e32 v[4:5], -0.5, v[24:25]
	v_fma_f64 v[36:37], s[14:15], v[22:23], v[4:5]
	v_fmac_f64_e32 v[4:5], s[2:3], v[22:23]
	v_fmac_f64_e32 v[36:37], s[6:7], v[20:21]
	;; [unrolled: 1-line block ×3, first 2 shown]
	v_add_f64 v[20:21], v[6:7], v[48:49]
	v_add_f64 v[20:21], v[20:21], v[50:51]
	;; [unrolled: 1-line block ×3, first 2 shown]
	v_add_f64 v[24:25], v[158:159], -v[154:155]
	v_add_f64 v[30:31], v[166:167], -v[42:43]
	v_add_f64 v[66:67], v[20:21], v[164:165]
	v_add_f64 v[20:21], v[50:51], v[156:157]
	;; [unrolled: 1-line block ×3, first 2 shown]
	v_fma_f64 v[30:31], -0.5, v[20:21], v[6:7]
	v_add_f64 v[20:21], v[154:155], -v[42:43]
	v_fmac_f64_e32 v[36:37], s[4:5], v[24:25]
	v_fmac_f64_e32 v[4:5], s[4:5], v[24:25]
	v_fma_f64 v[42:43], s[14:15], v[20:21], v[30:31]
	v_add_f64 v[22:23], v[158:159], -v[166:167]
	v_add_f64 v[24:25], v[48:49], -v[50:51]
	;; [unrolled: 1-line block ×3, first 2 shown]
	v_fmac_f64_e32 v[30:31], s[2:3], v[20:21]
	v_fmac_f64_e32 v[42:43], s[8:9], v[22:23]
	v_add_f64 v[24:25], v[24:25], v[32:33]
	v_fmac_f64_e32 v[30:31], s[6:7], v[22:23]
	v_fmac_f64_e32 v[42:43], s[4:5], v[24:25]
	;; [unrolled: 1-line block ×3, first 2 shown]
	v_add_f64 v[24:25], v[48:49], v[164:165]
	v_fmac_f64_e32 v[6:7], -0.5, v[24:25]
	v_fma_f64 v[38:39], s[2:3], v[22:23], v[6:7]
	v_fmac_f64_e32 v[6:7], s[14:15], v[22:23]
	v_fmac_f64_e32 v[38:39], s[8:9], v[20:21]
	v_fmac_f64_e32 v[6:7], s[6:7], v[20:21]
	v_add_f64 v[20:21], v[0:1], v[116:117]
	v_add_f64 v[20:21], v[20:21], v[120:121]
	;; [unrolled: 1-line block ×3, first 2 shown]
	v_add_f64 v[24:25], v[50:51], -v[48:49]
	v_add_f64 v[32:33], v[156:157], -v[164:165]
	v_add_f64 v[48:49], v[20:21], v[26:27]
	v_add_f64 v[20:21], v[120:121], v[176:177]
	;; [unrolled: 1-line block ×3, first 2 shown]
	v_fma_f64 v[32:33], -0.5, v[20:21], v[0:1]
	v_add_f64 v[22:23], v[172:173], -v[126:127]
	v_fmac_f64_e32 v[38:39], s[4:5], v[24:25]
	v_fmac_f64_e32 v[6:7], s[4:5], v[24:25]
	v_fma_f64 v[24:25], s[2:3], v[22:23], v[32:33]
	v_add_f64 v[34:35], v[174:175], -v[118:119]
	v_add_f64 v[20:21], v[116:117], -v[120:121]
	;; [unrolled: 1-line block ×3, first 2 shown]
	v_fmac_f64_e32 v[32:33], s[14:15], v[22:23]
	v_fmac_f64_e32 v[24:25], s[6:7], v[34:35]
	v_add_f64 v[20:21], v[20:21], v[50:51]
	v_fmac_f64_e32 v[32:33], s[8:9], v[34:35]
	v_fmac_f64_e32 v[24:25], s[4:5], v[20:21]
	;; [unrolled: 1-line block ×3, first 2 shown]
	v_add_f64 v[20:21], v[116:117], v[26:27]
	v_fmac_f64_e32 v[0:1], -0.5, v[20:21]
	v_fma_f64 v[20:21], s[14:15], v[34:35], v[0:1]
	v_fmac_f64_e32 v[0:1], s[2:3], v[34:35]
	v_fmac_f64_e32 v[20:21], s[6:7], v[22:23]
	;; [unrolled: 1-line block ×3, first 2 shown]
	v_add_f64 v[22:23], v[2:3], v[172:173]
	v_add_f64 v[50:51], v[120:121], -v[116:117]
	v_add_f64 v[100:101], v[176:177], -v[26:27]
	v_add_f64 v[22:23], v[22:23], v[174:175]
	v_add_f64 v[50:51], v[50:51], v[100:101]
	;; [unrolled: 1-line block ×3, first 2 shown]
	v_fmac_f64_e32 v[20:21], s[4:5], v[50:51]
	v_fmac_f64_e32 v[0:1], s[4:5], v[50:51]
	v_add_f64 v[50:51], v[22:23], v[126:127]
	v_add_f64 v[22:23], v[174:175], v[118:119]
	v_fma_f64 v[34:35], -0.5, v[22:23], v[2:3]
	v_add_f64 v[100:101], v[116:117], -v[26:27]
	v_fma_f64 v[26:27], s[14:15], v[100:101], v[34:35]
	v_add_f64 v[102:103], v[120:121], -v[176:177]
	v_add_f64 v[22:23], v[172:173], -v[174:175]
	;; [unrolled: 1-line block ×3, first 2 shown]
	v_fmac_f64_e32 v[34:35], s[2:3], v[100:101]
	v_fmac_f64_e32 v[26:27], s[8:9], v[102:103]
	v_add_f64 v[22:23], v[22:23], v[104:105]
	v_fmac_f64_e32 v[34:35], s[6:7], v[102:103]
	ds_write_b128 v243, v[92:95]
	ds_write_b128 v243, v[84:87] offset:2000
	ds_write_b128 v243, v[76:79] offset:4000
	;; [unrolled: 1-line block ×9, first 2 shown]
	v_lshlrev_b32_e32 v12, 4, v132
	v_fmac_f64_e32 v[26:27], s[4:5], v[22:23]
	v_fmac_f64_e32 v[34:35], s[4:5], v[22:23]
	v_add_f64 v[22:23], v[172:173], v[126:127]
	ds_write_b128 v12, v[68:71] offset:20000
	ds_write_b128 v12, v[56:59] offset:22000
	;; [unrolled: 1-line block ×5, first 2 shown]
	v_lshlrev_b32_e32 v8, 4, v125
	v_fmac_f64_e32 v[2:3], -0.5, v[22:23]
	ds_write_b128 v8, v[64:67] offset:30000
	ds_write_b128 v8, v[40:43] offset:32000
	;; [unrolled: 1-line block ×5, first 2 shown]
	v_accvgpr_write_b32 a209, v8
	v_add_co_u32_e32 v8, vcc, s11, v122
	v_fma_f64 v[22:23], s[2:3], v[102:103], v[2:3]
	v_add_f64 v[104:105], v[174:175], -v[172:173]
	v_add_f64 v[106:107], v[118:119], -v[126:127]
	v_fmac_f64_e32 v[2:3], s[14:15], v[102:103]
	v_addc_co_u32_e32 v9, vcc, 0, v123, vcc
	v_fmac_f64_e32 v[22:23], s[8:9], v[100:101]
	v_add_f64 v[104:105], v[104:105], v[106:107]
	v_fmac_f64_e32 v[2:3], s[6:7], v[100:101]
	v_add_co_u32_e32 v10, vcc, s16, v122
	v_fmac_f64_e32 v[22:23], s[4:5], v[104:105]
	v_fmac_f64_e32 v[2:3], s[4:5], v[104:105]
	v_lshlrev_b32_e32 v4, 4, v124
	v_addc_co_u32_e32 v11, vcc, 0, v123, vcc
	v_accvgpr_write_b32 a103, v12
	ds_write_b128 v4, v[48:51] offset:40000
	ds_write_b128 v4, v[24:27] offset:42000
	ds_write_b128 v4, v[20:23] offset:44000
	ds_write_b128 v4, v[0:3] offset:46000
	ds_write_b128 v4, v[32:35] offset:48000
	v_accvgpr_write_b32 a102, v4
	s_waitcnt lgkmcnt(0)
	s_barrier
	ds_read_b128 v[12:15], v243
	ds_read_b128 v[96:99], v243 offset:10000
	ds_read_b128 v[92:95], v243 offset:20000
	;; [unrolled: 1-line block ×24, first 2 shown]
	global_load_dwordx4 v[222:225], v[10:11], off offset:1728
	global_load_dwordx4 v[248:251], v[8:9], off offset:48
	;; [unrolled: 1-line block ×4, first 2 shown]
	s_waitcnt vmcnt(3) lgkmcnt(14)
	v_mul_f64 v[8:9], v[98:99], v[224:225]
	v_fma_f64 v[116:117], v[96:97], v[222:223], -v[8:9]
	v_mul_f64 v[96:97], v[96:97], v[224:225]
	s_waitcnt vmcnt(0)
	v_mul_f64 v[8:9], v[94:95], v[232:233]
	v_fma_f64 v[100:101], v[92:93], v[230:231], -v[8:9]
	v_mul_f64 v[8:9], v[90:91], v[236:237]
	v_fmac_f64_e32 v[96:97], v[98:99], v[222:223]
	v_fma_f64 v[98:99], v[88:89], v[234:235], -v[8:9]
	v_mul_f64 v[8:9], v[86:87], v[250:251]
	v_fma_f64 v[122:123], v[84:85], v[248:249], -v[8:9]
	v_lshlrev_b32_e32 v8, 6, v186
	v_add_co_u32_e32 v10, vcc, s10, v8
	v_addc_co_u32_e32 v11, vcc, 0, v160, vcc
	v_add_co_u32_e32 v8, vcc, s11, v10
	v_addc_co_u32_e32 v9, vcc, 0, v11, vcc
	;; [unrolled: 2-line block ×3, first 2 shown]
	global_load_dwordx4 v[206:209], v[10:11], off offset:1728
	global_load_dwordx4 v[218:221], v[8:9], off offset:48
	global_load_dwordx4 v[214:217], v[8:9], off offset:32
	global_load_dwordx4 v[210:213], v[8:9], off offset:16
	v_mul_f64 v[84:85], v[84:85], v[250:251]
	v_mul_f64 v[92:93], v[92:93], v[232:233]
	v_fmac_f64_e32 v[84:85], v[86:87], v[248:249]
	v_fmac_f64_e32 v[92:93], v[94:95], v[230:231]
	v_mul_f64 v[88:89], v[88:89], v[236:237]
	v_fmac_f64_e32 v[88:89], v[90:91], v[234:235]
	s_waitcnt vmcnt(3)
	v_mul_f64 v[8:9], v[82:83], v[208:209]
	v_fma_f64 v[86:87], v[80:81], v[206:207], -v[8:9]
	v_mul_f64 v[80:81], v[80:81], v[208:209]
	s_waitcnt vmcnt(0)
	v_mul_f64 v[8:9], v[78:79], v[212:213]
	v_fmac_f64_e32 v[80:81], v[82:83], v[206:207]
	v_fma_f64 v[94:95], v[76:77], v[210:211], -v[8:9]
	v_mul_f64 v[82:83], v[76:77], v[212:213]
	v_mul_f64 v[8:9], v[74:75], v[216:217]
	v_fmac_f64_e32 v[82:83], v[78:79], v[210:211]
	v_fma_f64 v[78:79], v[72:73], v[214:215], -v[8:9]
	v_mul_f64 v[8:9], v[70:71], v[220:221]
	v_fma_f64 v[126:127], v[68:69], v[218:219], -v[8:9]
	v_lshlrev_b32_e32 v8, 6, v187
	v_add_co_u32_e32 v10, vcc, s10, v8
	v_addc_co_u32_e32 v11, vcc, 0, v160, vcc
	v_add_co_u32_e32 v8, vcc, s11, v10
	v_addc_co_u32_e32 v9, vcc, 0, v11, vcc
	;; [unrolled: 2-line block ×3, first 2 shown]
	global_load_dwordx4 v[190:193], v[10:11], off offset:1728
	global_load_dwordx4 v[202:205], v[8:9], off offset:48
	;; [unrolled: 1-line block ×4, first 2 shown]
	v_mul_f64 v[102:103], v[72:73], v[216:217]
	v_fmac_f64_e32 v[102:103], v[74:75], v[214:215]
	v_mul_f64 v[68:69], v[68:69], v[220:221]
	v_fmac_f64_e32 v[68:69], v[70:71], v[218:219]
	v_add_f64 v[76:77], v[84:85], -v[88:89]
	s_waitcnt vmcnt(3) lgkmcnt(13)
	v_mul_f64 v[8:9], v[66:67], v[192:193]
	v_fma_f64 v[90:91], v[64:65], v[190:191], -v[8:9]
	v_mul_f64 v[70:71], v[64:65], v[192:193]
	s_waitcnt vmcnt(0) lgkmcnt(12)
	v_mul_f64 v[8:9], v[62:63], v[196:197]
	v_fma_f64 v[74:75], v[60:61], v[194:195], -v[8:9]
	s_waitcnt lgkmcnt(11)
	v_mul_f64 v[8:9], v[58:59], v[200:201]
	v_mul_f64 v[60:61], v[60:61], v[196:197]
	v_fma_f64 v[72:73], v[56:57], v[198:199], -v[8:9]
	s_waitcnt lgkmcnt(10)
	v_mul_f64 v[8:9], v[54:55], v[204:205]
	v_fmac_f64_e32 v[60:61], v[62:63], v[194:195]
	v_fma_f64 v[62:63], v[52:53], v[202:203], -v[8:9]
	v_lshlrev_b32_e32 v8, 6, v188
	v_add_co_u32_e32 v10, vcc, s10, v8
	v_addc_co_u32_e32 v11, vcc, 0, v160, vcc
	v_add_co_u32_e32 v8, vcc, s11, v10
	v_addc_co_u32_e32 v9, vcc, 0, v11, vcc
	;; [unrolled: 2-line block ×3, first 2 shown]
	global_load_dwordx4 v[164:167], v[10:11], off offset:1728
	global_load_dwordx4 v[186:189], v[8:9], off offset:48
	;; [unrolled: 1-line block ×4, first 2 shown]
	v_mul_f64 v[52:53], v[52:53], v[204:205]
	v_mul_f64 v[56:57], v[56:57], v[200:201]
	v_fmac_f64_e32 v[52:53], v[54:55], v[202:203]
	v_fmac_f64_e32 v[56:57], v[58:59], v[198:199]
	v_add_f64 v[64:65], v[98:99], -v[122:123]
	v_fmac_f64_e32 v[70:71], v[66:67], v[190:191]
	v_add_f64 v[66:67], v[100:101], -v[98:99]
	s_waitcnt vmcnt(3) lgkmcnt(8)
	v_mul_f64 v[8:9], v[50:51], v[166:167]
	v_fma_f64 v[54:55], v[48:49], v[164:165], -v[8:9]
	v_mul_f64 v[112:113], v[48:49], v[166:167]
	s_waitcnt vmcnt(0) lgkmcnt(7)
	v_mul_f64 v[8:9], v[42:43], v[174:175]
	v_fma_f64 v[58:59], v[40:41], v[172:173], -v[8:9]
	s_waitcnt lgkmcnt(6)
	v_mul_f64 v[8:9], v[34:35], v[240:241]
	v_fmac_f64_e32 v[112:113], v[50:51], v[164:165]
	v_mul_f64 v[114:115], v[40:41], v[174:175]
	v_fma_f64 v[50:51], v[32:33], v[238:239], -v[8:9]
	s_waitcnt lgkmcnt(5)
	v_mul_f64 v[8:9], v[30:31], v[188:189]
	v_fmac_f64_e32 v[114:115], v[42:43], v[172:173]
	v_fma_f64 v[42:43], v[28:29], v[186:187], -v[8:9]
	v_lshlrev_b32_e32 v8, 6, v163
	v_add_co_u32_e32 v10, vcc, s10, v8
	v_addc_co_u32_e32 v11, vcc, 0, v160, vcc
	v_add_co_u32_e32 v8, vcc, s11, v10
	v_addc_co_u32_e32 v9, vcc, 0, v11, vcc
	;; [unrolled: 2-line block ×3, first 2 shown]
	global_load_dwordx4 v[144:147], v[10:11], off offset:1728
	global_load_dwordx4 v[156:159], v[8:9], off offset:48
	;; [unrolled: 1-line block ×4, first 2 shown]
	v_mul_f64 v[48:49], v[32:33], v[240:241]
	v_mul_f64 v[40:41], v[28:29], v[188:189]
	v_fmac_f64_e32 v[48:49], v[34:35], v[238:239]
	v_fmac_f64_e32 v[40:41], v[30:31], v[186:187]
	v_add_f64 v[30:31], v[92:93], -v[88:89]
	v_add_f64 v[32:33], v[116:117], -v[100:101]
	;; [unrolled: 1-line block ×3, first 2 shown]
	v_add_f64 v[32:33], v[32:33], v[34:35]
	v_add_f64 v[34:35], v[100:101], -v[116:117]
	v_add_f64 v[34:35], v[34:35], v[64:65]
	v_add_f64 v[64:65], v[116:117], -v[122:123]
	s_mov_b32 s10, 0xc350
	s_waitcnt vmcnt(3) lgkmcnt(3)
	v_mul_f64 v[8:9], v[2:3], v[146:147]
	v_mul_f64 v[16:17], v[0:1], v[146:147]
	v_fma_f64 v[18:19], v[0:1], v[144:145], -v[8:9]
	v_fmac_f64_e32 v[16:17], v[2:3], v[144:145]
	s_waitcnt vmcnt(0) lgkmcnt(2)
	v_mul_f64 v[0:1], v[6:7], v[150:151]
	v_add_f64 v[2:3], v[12:13], v[116:117]
	v_fma_f64 v[110:111], v[4:5], v[148:149], -v[0:1]
	s_waitcnt lgkmcnt(1)
	v_mul_f64 v[0:1], v[106:107], v[154:155]
	v_add_f64 v[2:3], v[2:3], v[100:101]
	v_mul_f64 v[8:9], v[4:5], v[150:151]
	v_fma_f64 v[10:11], v[104:105], v[152:153], -v[0:1]
	s_waitcnt lgkmcnt(0)
	v_mul_f64 v[0:1], v[120:121], v[158:159]
	v_add_f64 v[2:3], v[2:3], v[98:99]
	v_fmac_f64_e32 v[8:9], v[6:7], v[148:149]
	v_fma_f64 v[6:7], v[118:119], v[156:157], -v[0:1]
	v_mul_f64 v[0:1], v[118:119], v[158:159]
	v_add_f64 v[118:119], v[2:3], v[122:123]
	v_add_f64 v[2:3], v[100:101], v[98:99]
	v_fma_f64 v[2:3], -0.5, v[2:3], v[12:13]
	v_add_f64 v[4:5], v[96:97], -v[84:85]
	v_fma_f64 v[28:29], s[2:3], v[4:5], v[2:3]
	v_fmac_f64_e32 v[2:3], s[14:15], v[4:5]
	v_fmac_f64_e32 v[28:29], s[6:7], v[30:31]
	;; [unrolled: 1-line block ×5, first 2 shown]
	v_add_f64 v[32:33], v[116:117], v[122:123]
	v_fmac_f64_e32 v[12:13], -0.5, v[32:33]
	v_fma_f64 v[32:33], s[14:15], v[30:31], v[12:13]
	v_fmac_f64_e32 v[12:13], s[2:3], v[30:31]
	v_fmac_f64_e32 v[32:33], s[6:7], v[4:5]
	;; [unrolled: 1-line block ×3, first 2 shown]
	v_add_f64 v[4:5], v[14:15], v[96:97]
	v_add_f64 v[4:5], v[4:5], v[92:93]
	;; [unrolled: 1-line block ×3, first 2 shown]
	v_fmac_f64_e32 v[0:1], v[120:121], v[156:157]
	v_add_f64 v[120:121], v[4:5], v[84:85]
	v_add_f64 v[4:5], v[92:93], v[88:89]
	v_fma_f64 v[4:5], -0.5, v[4:5], v[14:15]
	v_fmac_f64_e32 v[32:33], s[4:5], v[34:35]
	v_fmac_f64_e32 v[12:13], s[4:5], v[34:35]
	v_fma_f64 v[30:31], s[14:15], v[64:65], v[4:5]
	v_add_f64 v[34:35], v[96:97], -v[92:93]
	v_fmac_f64_e32 v[4:5], s[2:3], v[64:65]
	v_fmac_f64_e32 v[30:31], s[8:9], v[66:67]
	v_add_f64 v[34:35], v[34:35], v[76:77]
	v_fmac_f64_e32 v[4:5], s[6:7], v[66:67]
	v_fmac_f64_e32 v[30:31], s[4:5], v[34:35]
	;; [unrolled: 1-line block ×3, first 2 shown]
	v_add_f64 v[34:35], v[96:97], v[84:85]
	v_fmac_f64_e32 v[14:15], -0.5, v[34:35]
	v_fma_f64 v[34:35], s[2:3], v[66:67], v[14:15]
	v_fmac_f64_e32 v[14:15], s[14:15], v[66:67]
	v_fmac_f64_e32 v[34:35], s[8:9], v[64:65]
	;; [unrolled: 1-line block ×3, first 2 shown]
	v_add_f64 v[64:65], v[20:21], v[86:87]
	v_add_f64 v[64:65], v[64:65], v[94:95]
	;; [unrolled: 1-line block ×3, first 2 shown]
	v_add_f64 v[76:77], v[92:93], -v[96:97]
	v_add_f64 v[84:85], v[88:89], -v[84:85]
	v_add_f64 v[122:123], v[64:65], v[126:127]
	v_add_f64 v[64:65], v[94:95], v[78:79]
	;; [unrolled: 1-line block ×3, first 2 shown]
	v_fma_f64 v[64:65], -0.5, v[64:65], v[20:21]
	v_add_f64 v[66:67], v[80:81], -v[68:69]
	v_fmac_f64_e32 v[34:35], s[4:5], v[76:77]
	v_fmac_f64_e32 v[14:15], s[4:5], v[76:77]
	v_fma_f64 v[84:85], s[2:3], v[66:67], v[64:65]
	v_add_f64 v[88:89], v[82:83], -v[102:103]
	v_add_f64 v[76:77], v[86:87], -v[94:95]
	;; [unrolled: 1-line block ×3, first 2 shown]
	v_fmac_f64_e32 v[64:65], s[14:15], v[66:67]
	v_fmac_f64_e32 v[84:85], s[6:7], v[88:89]
	v_add_f64 v[76:77], v[76:77], v[92:93]
	v_fmac_f64_e32 v[64:65], s[8:9], v[88:89]
	v_fmac_f64_e32 v[84:85], s[4:5], v[76:77]
	;; [unrolled: 1-line block ×3, first 2 shown]
	v_add_f64 v[76:77], v[86:87], v[126:127]
	v_fmac_f64_e32 v[20:21], -0.5, v[76:77]
	v_fma_f64 v[76:77], s[14:15], v[88:89], v[20:21]
	v_fmac_f64_e32 v[20:21], s[2:3], v[88:89]
	v_fmac_f64_e32 v[76:77], s[6:7], v[66:67]
	;; [unrolled: 1-line block ×3, first 2 shown]
	v_add_f64 v[66:67], v[22:23], v[80:81]
	v_add_f64 v[66:67], v[66:67], v[82:83]
	;; [unrolled: 1-line block ×3, first 2 shown]
	v_add_f64 v[92:93], v[94:95], -v[86:87]
	v_add_f64 v[96:97], v[78:79], -v[126:127]
	v_add_f64 v[124:125], v[66:67], v[68:69]
	v_add_f64 v[66:67], v[82:83], v[102:103]
	;; [unrolled: 1-line block ×3, first 2 shown]
	v_fma_f64 v[66:67], -0.5, v[66:67], v[22:23]
	v_add_f64 v[88:89], v[86:87], -v[126:127]
	v_fmac_f64_e32 v[76:77], s[4:5], v[92:93]
	v_fmac_f64_e32 v[20:21], s[4:5], v[92:93]
	v_fma_f64 v[86:87], s[14:15], v[88:89], v[66:67]
	v_add_f64 v[92:93], v[94:95], -v[78:79]
	v_add_f64 v[78:79], v[80:81], -v[82:83]
	;; [unrolled: 1-line block ×3, first 2 shown]
	v_fmac_f64_e32 v[66:67], s[2:3], v[88:89]
	v_fmac_f64_e32 v[86:87], s[8:9], v[92:93]
	v_add_f64 v[78:79], v[78:79], v[94:95]
	v_fmac_f64_e32 v[66:67], s[6:7], v[92:93]
	v_fmac_f64_e32 v[86:87], s[4:5], v[78:79]
	;; [unrolled: 1-line block ×3, first 2 shown]
	v_add_f64 v[78:79], v[80:81], v[68:69]
	v_fmac_f64_e32 v[22:23], -0.5, v[78:79]
	v_fma_f64 v[78:79], s[2:3], v[92:93], v[22:23]
	v_add_f64 v[80:81], v[82:83], -v[80:81]
	v_add_f64 v[68:69], v[102:103], -v[68:69]
	v_fmac_f64_e32 v[22:23], s[14:15], v[92:93]
	v_fmac_f64_e32 v[78:79], s[8:9], v[88:89]
	v_add_f64 v[68:69], v[80:81], v[68:69]
	v_fmac_f64_e32 v[22:23], s[6:7], v[88:89]
	v_fmac_f64_e32 v[78:79], s[4:5], v[68:69]
	;; [unrolled: 1-line block ×3, first 2 shown]
	v_add_f64 v[68:69], v[24:25], v[90:91]
	v_add_f64 v[68:69], v[68:69], v[74:75]
	;; [unrolled: 1-line block ×5, first 2 shown]
	v_fma_f64 v[96:97], -0.5, v[68:69], v[24:25]
	v_add_f64 v[68:69], v[70:71], -v[52:53]
	v_mul_f64 v[108:109], v[104:105], v[154:155]
	v_fma_f64 v[104:105], s[2:3], v[68:69], v[96:97]
	v_add_f64 v[82:83], v[60:61], -v[56:57]
	v_add_f64 v[88:89], v[90:91], -v[74:75]
	;; [unrolled: 1-line block ×3, first 2 shown]
	v_fmac_f64_e32 v[96:97], s[14:15], v[68:69]
	v_fmac_f64_e32 v[104:105], s[6:7], v[82:83]
	v_add_f64 v[88:89], v[88:89], v[92:93]
	v_fmac_f64_e32 v[96:97], s[8:9], v[82:83]
	v_fmac_f64_e32 v[104:105], s[4:5], v[88:89]
	;; [unrolled: 1-line block ×3, first 2 shown]
	v_add_f64 v[88:89], v[90:91], v[62:63]
	v_fmac_f64_e32 v[24:25], -0.5, v[88:89]
	v_fma_f64 v[100:101], s[14:15], v[82:83], v[24:25]
	v_fmac_f64_e32 v[24:25], s[2:3], v[82:83]
	v_fmac_f64_e32 v[100:101], s[6:7], v[68:69]
	;; [unrolled: 1-line block ×3, first 2 shown]
	v_add_f64 v[68:69], v[26:27], v[70:71]
	v_add_f64 v[68:69], v[68:69], v[60:61]
	;; [unrolled: 1-line block ×5, first 2 shown]
	v_add_f64 v[92:93], v[72:73], -v[62:63]
	v_fma_f64 v[98:99], -0.5, v[68:69], v[26:27]
	v_add_f64 v[62:63], v[90:91], -v[62:63]
	v_fmac_f64_e32 v[108:109], v[106:107], v[152:153]
	v_add_f64 v[88:89], v[74:75], -v[90:91]
	v_fma_f64 v[106:107], s[14:15], v[62:63], v[98:99]
	v_add_f64 v[68:69], v[74:75], -v[72:73]
	v_add_f64 v[72:73], v[70:71], -v[60:61]
	v_add_f64 v[74:75], v[52:53], -v[56:57]
	v_fmac_f64_e32 v[98:99], s[2:3], v[62:63]
	v_fmac_f64_e32 v[106:107], s[8:9], v[68:69]
	v_add_f64 v[72:73], v[72:73], v[74:75]
	v_fmac_f64_e32 v[98:99], s[6:7], v[68:69]
	v_fmac_f64_e32 v[106:107], s[4:5], v[72:73]
	;; [unrolled: 1-line block ×3, first 2 shown]
	v_add_f64 v[72:73], v[70:71], v[52:53]
	v_fmac_f64_e32 v[26:27], -0.5, v[72:73]
	v_fma_f64 v[102:103], s[2:3], v[68:69], v[26:27]
	v_add_f64 v[60:61], v[60:61], -v[70:71]
	v_add_f64 v[52:53], v[56:57], -v[52:53]
	v_fmac_f64_e32 v[26:27], s[14:15], v[68:69]
	v_fmac_f64_e32 v[102:103], s[8:9], v[62:63]
	v_add_f64 v[52:53], v[60:61], v[52:53]
	v_fmac_f64_e32 v[26:27], s[6:7], v[62:63]
	v_fmac_f64_e32 v[102:103], s[4:5], v[52:53]
	;; [unrolled: 1-line block ×3, first 2 shown]
	v_add_f64 v[52:53], v[36:37], v[54:55]
	v_add_f64 v[52:53], v[52:53], v[58:59]
	;; [unrolled: 1-line block ×4, first 2 shown]
	v_fmac_f64_e32 v[100:101], s[4:5], v[88:89]
	v_fmac_f64_e32 v[24:25], s[4:5], v[88:89]
	v_add_f64 v[88:89], v[52:53], v[42:43]
	v_add_f64 v[52:53], v[58:59], v[50:51]
	v_fma_f64 v[72:73], -0.5, v[52:53], v[36:37]
	v_add_f64 v[60:61], v[112:113], -v[40:41]
	v_fma_f64 v[52:53], s[2:3], v[60:61], v[72:73]
	v_add_f64 v[62:63], v[114:115], -v[48:49]
	v_add_f64 v[56:57], v[54:55], -v[58:59]
	v_add_f64 v[68:69], v[42:43], -v[50:51]
	v_fmac_f64_e32 v[72:73], s[14:15], v[60:61]
	v_fmac_f64_e32 v[52:53], s[6:7], v[62:63]
	v_add_f64 v[56:57], v[56:57], v[68:69]
	v_fmac_f64_e32 v[72:73], s[8:9], v[62:63]
	v_fmac_f64_e32 v[52:53], s[4:5], v[56:57]
	;; [unrolled: 1-line block ×3, first 2 shown]
	v_add_f64 v[56:57], v[54:55], v[42:43]
	v_fmac_f64_e32 v[36:37], -0.5, v[56:57]
	v_fma_f64 v[56:57], s[14:15], v[62:63], v[36:37]
	v_fmac_f64_e32 v[36:37], s[2:3], v[62:63]
	v_fmac_f64_e32 v[56:57], s[6:7], v[60:61]
	;; [unrolled: 1-line block ×3, first 2 shown]
	v_add_f64 v[60:61], v[38:39], v[112:113]
	v_add_f64 v[60:61], v[60:61], v[114:115]
	v_add_f64 v[60:61], v[60:61], v[48:49]
	v_add_f64 v[90:91], v[60:61], v[40:41]
	v_add_f64 v[60:61], v[114:115], v[48:49]
	v_add_f64 v[70:71], v[50:51], -v[42:43]
	v_fma_f64 v[74:75], -0.5, v[60:61], v[38:39]
	v_add_f64 v[42:43], v[54:55], -v[42:43]
	v_add_f64 v[68:69], v[58:59], -v[54:55]
	v_fma_f64 v[54:55], s[14:15], v[42:43], v[74:75]
	v_add_f64 v[50:51], v[58:59], -v[50:51]
	v_add_f64 v[58:59], v[112:113], -v[114:115]
	;; [unrolled: 1-line block ×3, first 2 shown]
	v_fmac_f64_e32 v[74:75], s[2:3], v[42:43]
	v_fmac_f64_e32 v[54:55], s[8:9], v[50:51]
	v_add_f64 v[58:59], v[58:59], v[60:61]
	v_fmac_f64_e32 v[74:75], s[6:7], v[50:51]
	v_fmac_f64_e32 v[54:55], s[4:5], v[58:59]
	;; [unrolled: 1-line block ×3, first 2 shown]
	v_add_f64 v[58:59], v[112:113], v[40:41]
	v_fmac_f64_e32 v[38:39], -0.5, v[58:59]
	v_fma_f64 v[58:59], s[2:3], v[50:51], v[38:39]
	v_add_f64 v[60:61], v[114:115], -v[112:113]
	v_add_f64 v[40:41], v[48:49], -v[40:41]
	v_fmac_f64_e32 v[38:39], s[14:15], v[50:51]
	v_fmac_f64_e32 v[58:59], s[8:9], v[42:43]
	v_add_f64 v[40:41], v[60:61], v[40:41]
	v_fmac_f64_e32 v[38:39], s[6:7], v[42:43]
	v_fmac_f64_e32 v[58:59], s[4:5], v[40:41]
	;; [unrolled: 1-line block ×3, first 2 shown]
	v_add_f64 v[40:41], v[44:45], v[18:19]
	v_add_f64 v[40:41], v[40:41], v[110:111]
	;; [unrolled: 1-line block ×6, first 2 shown]
	v_fma_f64 v[40:41], -0.5, v[40:41], v[44:45]
	v_add_f64 v[42:43], v[16:17], -v[0:1]
	v_fmac_f64_e32 v[56:57], s[4:5], v[68:69]
	v_fmac_f64_e32 v[36:37], s[4:5], v[68:69]
	v_fma_f64 v[60:61], s[2:3], v[42:43], v[40:41]
	v_add_f64 v[50:51], v[8:9], -v[108:109]
	v_add_f64 v[62:63], v[18:19], -v[110:111]
	;; [unrolled: 1-line block ×3, first 2 shown]
	v_fmac_f64_e32 v[40:41], s[14:15], v[42:43]
	v_fmac_f64_e32 v[60:61], s[6:7], v[50:51]
	v_add_f64 v[62:63], v[62:63], v[68:69]
	v_fmac_f64_e32 v[40:41], s[8:9], v[50:51]
	v_fmac_f64_e32 v[60:61], s[4:5], v[62:63]
	v_fmac_f64_e32 v[40:41], s[4:5], v[62:63]
	v_add_f64 v[62:63], v[18:19], v[6:7]
	v_fmac_f64_e32 v[44:45], -0.5, v[62:63]
	v_fma_f64 v[68:69], s[14:15], v[50:51], v[44:45]
	v_fmac_f64_e32 v[44:45], s[2:3], v[50:51]
	v_fmac_f64_e32 v[68:69], s[6:7], v[42:43]
	;; [unrolled: 1-line block ×3, first 2 shown]
	v_add_f64 v[42:43], v[46:47], v[16:17]
	v_add_f64 v[42:43], v[42:43], v[8:9]
	;; [unrolled: 1-line block ×3, first 2 shown]
	v_add_f64 v[62:63], v[110:111], -v[18:19]
	v_add_f64 v[70:71], v[10:11], -v[6:7]
	v_add_f64 v[50:51], v[42:43], v[0:1]
	v_add_f64 v[42:43], v[8:9], v[108:109]
	;; [unrolled: 1-line block ×3, first 2 shown]
	v_fma_f64 v[42:43], -0.5, v[42:43], v[46:47]
	v_add_f64 v[6:7], v[18:19], -v[6:7]
	v_fmac_f64_e32 v[68:69], s[4:5], v[62:63]
	v_fmac_f64_e32 v[44:45], s[4:5], v[62:63]
	v_fma_f64 v[62:63], s[14:15], v[6:7], v[42:43]
	v_add_f64 v[10:11], v[110:111], -v[10:11]
	v_add_f64 v[18:19], v[16:17], -v[8:9]
	;; [unrolled: 1-line block ×3, first 2 shown]
	v_fmac_f64_e32 v[42:43], s[2:3], v[6:7]
	v_fmac_f64_e32 v[62:63], s[8:9], v[10:11]
	v_add_f64 v[18:19], v[18:19], v[70:71]
	v_fmac_f64_e32 v[42:43], s[6:7], v[10:11]
	v_fmac_f64_e32 v[62:63], s[4:5], v[18:19]
	;; [unrolled: 1-line block ×3, first 2 shown]
	v_add_f64 v[18:19], v[16:17], v[0:1]
	v_fmac_f64_e32 v[46:47], -0.5, v[18:19]
	v_fma_f64 v[70:71], s[2:3], v[10:11], v[46:47]
	v_add_f64 v[8:9], v[8:9], -v[16:17]
	v_add_f64 v[0:1], v[108:109], -v[0:1]
	v_fmac_f64_e32 v[46:47], s[14:15], v[10:11]
	v_fmac_f64_e32 v[70:71], s[8:9], v[6:7]
	v_add_f64 v[0:1], v[8:9], v[0:1]
	v_fmac_f64_e32 v[46:47], s[6:7], v[6:7]
	v_fmac_f64_e32 v[70:71], s[4:5], v[0:1]
	v_fmac_f64_e32 v[46:47], s[4:5], v[0:1]
	v_add_co_u32_e32 v0, vcc, s10, v162
	v_addc_co_u32_e32 v1, vcc, 0, v161, vcc
	s_mov_b32 s10, 0xc000
	v_add_co_u32_e32 v6, vcc, s10, v162
	v_addc_co_u32_e32 v7, vcc, 0, v161, vcc
	ds_write_b128 v243, v[118:121]
	ds_write_b128 v243, v[28:31] offset:10000
	ds_write_b128 v243, v[32:35] offset:20000
	;; [unrolled: 1-line block ×24, first 2 shown]
	s_waitcnt lgkmcnt(0)
	s_barrier
	global_load_dwordx4 v[6:9], v[6:7], off offset:848
	ds_read_b128 v[2:5], v243
	s_mov_b32 s10, 0xe000
	s_waitcnt vmcnt(0) lgkmcnt(0)
	v_mul_f64 v[10:11], v[4:5], v[8:9]
	v_mul_f64 v[12:13], v[2:3], v[8:9]
	v_add_co_u32_e32 v8, vcc, s10, v162
	v_fma_f64 v[10:11], v[2:3], v[6:7], -v[10:11]
	v_fmac_f64_e32 v[12:13], v[4:5], v[6:7]
	v_addc_co_u32_e32 v9, vcc, 0, v161, vcc
	ds_write_b128 v243, v[10:13]
	global_load_dwordx4 v[10:13], v[8:9], off offset:2656
	ds_read_b128 v[2:5], v243 offset:10000
	s_mov_b32 s10, 0x11000
	v_add_co_u32_e32 v22, vcc, s10, v162
	v_addc_co_u32_e32 v23, vcc, 0, v161, vcc
	s_mov_b32 s10, 0x13000
	s_waitcnt vmcnt(0) lgkmcnt(0)
	v_mul_f64 v[6:7], v[4:5], v[12:13]
	v_mul_f64 v[16:17], v[2:3], v[12:13]
	v_fma_f64 v[14:15], v[2:3], v[10:11], -v[6:7]
	v_fmac_f64_e32 v[16:17], v[4:5], v[10:11]
	global_load_dwordx4 v[10:13], v[22:23], off offset:368
	ds_read_b128 v[2:5], v243 offset:20000
	ds_write_b128 v243, v[14:17] offset:10000
	s_waitcnt vmcnt(0) lgkmcnt(1)
	v_mul_f64 v[6:7], v[4:5], v[12:13]
	v_fma_f64 v[14:15], v[2:3], v[10:11], -v[6:7]
	v_add_co_u32_e32 v6, vcc, s10, v162
	v_mul_f64 v[16:17], v[2:3], v[12:13]
	v_addc_co_u32_e32 v7, vcc, 0, v161, vcc
	v_fmac_f64_e32 v[16:17], v[4:5], v[10:11]
	global_load_dwordx4 v[10:13], v[6:7], off offset:2176
	ds_read_b128 v[2:5], v243 offset:30000
	ds_write_b128 v243, v[14:17] offset:20000
	s_mov_b32 s10, 0x15000
	s_waitcnt vmcnt(0) lgkmcnt(1)
	v_mul_f64 v[16:17], v[2:3], v[12:13]
	v_mul_f64 v[14:15], v[4:5], v[12:13]
	v_fmac_f64_e32 v[16:17], v[4:5], v[10:11]
	v_add_co_u32_e32 v4, vcc, s10, v162
	v_fma_f64 v[14:15], v[2:3], v[10:11], -v[14:15]
	v_addc_co_u32_e32 v5, vcc, 0, v161, vcc
	ds_write_b128 v243, v[14:17] offset:30000
	global_load_dwordx4 v[14:17], v[4:5], off offset:3984
	ds_read_b128 v[10:13], v243 offset:40000
	s_mov_b32 s10, 0xf000
	v_add_co_u32_e32 v24, vcc, s10, v162
	v_addc_co_u32_e32 v25, vcc, 0, v161, vcc
	s_mov_b32 s10, 0x14000
	s_waitcnt vmcnt(0) lgkmcnt(0)
	v_mul_f64 v[2:3], v[12:13], v[16:17]
	v_mul_f64 v[20:21], v[10:11], v[16:17]
	v_fma_f64 v[18:19], v[10:11], v[14:15], -v[2:3]
	v_fmac_f64_e32 v[20:21], v[12:13], v[14:15]
	global_load_dwordx4 v[14:17], v[0:1], off offset:2000
	ds_read_b128 v[10:13], v243 offset:2000
	ds_write_b128 v243, v[18:21] offset:40000
	s_waitcnt vmcnt(0) lgkmcnt(1)
	v_mul_f64 v[2:3], v[12:13], v[16:17]
	v_mul_f64 v[20:21], v[10:11], v[16:17]
	v_fma_f64 v[18:19], v[10:11], v[14:15], -v[2:3]
	v_fmac_f64_e32 v[20:21], v[12:13], v[14:15]
	global_load_dwordx4 v[14:17], v[24:25], off offset:560
	ds_read_b128 v[10:13], v243 offset:12000
	ds_write_b128 v243, v[18:21] offset:2000
	s_waitcnt vmcnt(0) lgkmcnt(1)
	v_mul_f64 v[2:3], v[12:13], v[16:17]
	v_mul_f64 v[20:21], v[10:11], v[16:17]
	v_fma_f64 v[18:19], v[10:11], v[14:15], -v[2:3]
	v_fmac_f64_e32 v[20:21], v[12:13], v[14:15]
	global_load_dwordx4 v[14:17], v[22:23], off offset:2368
	ds_read_b128 v[10:13], v243 offset:22000
	v_add_co_u32_e32 v22, vcc, s10, v162
	ds_write_b128 v243, v[18:21] offset:12000
	v_addc_co_u32_e32 v23, vcc, 0, v161, vcc
	s_mov_b32 s10, 0x16000
	v_add_co_u32_e32 v26, vcc, s10, v162
	v_addc_co_u32_e32 v27, vcc, 0, v161, vcc
	s_mov_b32 s10, 0x12000
	s_waitcnt vmcnt(0) lgkmcnt(1)
	v_mul_f64 v[2:3], v[12:13], v[16:17]
	v_mul_f64 v[20:21], v[10:11], v[16:17]
	v_fma_f64 v[18:19], v[10:11], v[14:15], -v[2:3]
	v_fmac_f64_e32 v[20:21], v[12:13], v[14:15]
	global_load_dwordx4 v[14:17], v[22:23], off offset:80
	ds_read_b128 v[10:13], v243 offset:32000
	ds_write_b128 v243, v[18:21] offset:22000
	s_waitcnt vmcnt(0) lgkmcnt(1)
	v_mul_f64 v[2:3], v[12:13], v[16:17]
	v_mul_f64 v[20:21], v[10:11], v[16:17]
	v_fma_f64 v[18:19], v[10:11], v[14:15], -v[2:3]
	v_fmac_f64_e32 v[20:21], v[12:13], v[14:15]
	global_load_dwordx4 v[14:17], v[26:27], off offset:1888
	ds_read_b128 v[10:13], v243 offset:42000
	ds_write_b128 v243, v[18:21] offset:32000
	s_waitcnt vmcnt(0) lgkmcnt(1)
	v_mul_f64 v[2:3], v[12:13], v[16:17]
	v_fma_f64 v[18:19], v[10:11], v[14:15], -v[2:3]
	global_load_dwordx4 v[0:3], v[0:1], off offset:4000
	v_mul_f64 v[20:21], v[10:11], v[16:17]
	v_fmac_f64_e32 v[20:21], v[12:13], v[14:15]
	ds_read_b128 v[10:13], v243 offset:4000
	ds_write_b128 v243, v[18:21] offset:42000
	s_waitcnt vmcnt(0) lgkmcnt(1)
	v_mul_f64 v[14:15], v[12:13], v[2:3]
	v_mul_f64 v[16:17], v[10:11], v[2:3]
	v_fma_f64 v[14:15], v[10:11], v[0:1], -v[14:15]
	v_fmac_f64_e32 v[16:17], v[12:13], v[0:1]
	global_load_dwordx4 v[10:13], v[24:25], off offset:2560
	ds_read_b128 v[0:3], v243 offset:14000
	v_add_co_u32_e32 v24, vcc, s10, v162
	ds_write_b128 v243, v[14:17] offset:4000
	v_addc_co_u32_e32 v25, vcc, 0, v161, vcc
	s_mov_b32 s10, 0xd000
	s_waitcnt vmcnt(0) lgkmcnt(1)
	v_mul_f64 v[14:15], v[2:3], v[12:13]
	v_mul_f64 v[16:17], v[0:1], v[12:13]
	v_fma_f64 v[14:15], v[0:1], v[10:11], -v[14:15]
	v_fmac_f64_e32 v[16:17], v[2:3], v[10:11]
	global_load_dwordx4 v[10:13], v[24:25], off offset:272
	ds_read_b128 v[0:3], v243 offset:24000
	ds_write_b128 v243, v[14:17] offset:14000
	s_waitcnt vmcnt(0) lgkmcnt(1)
	v_mul_f64 v[14:15], v[2:3], v[12:13]
	v_mul_f64 v[16:17], v[0:1], v[12:13]
	v_fma_f64 v[14:15], v[0:1], v[10:11], -v[14:15]
	v_fmac_f64_e32 v[16:17], v[2:3], v[10:11]
	global_load_dwordx4 v[10:13], v[22:23], off offset:2080
	ds_read_b128 v[0:3], v243 offset:34000
	ds_write_b128 v243, v[14:17] offset:24000
	;; [unrolled: 8-line block ×3, first 2 shown]
	s_waitcnt vmcnt(0) lgkmcnt(1)
	v_mul_f64 v[14:15], v[2:3], v[12:13]
	v_mul_f64 v[16:17], v[0:1], v[12:13]
	v_fma_f64 v[14:15], v[0:1], v[10:11], -v[14:15]
	v_fmac_f64_e32 v[16:17], v[2:3], v[10:11]
	v_add_co_u32_e32 v10, vcc, s10, v162
	v_addc_co_u32_e32 v11, vcc, 0, v161, vcc
	global_load_dwordx4 v[10:13], v[10:11], off offset:2752
	ds_read_b128 v[0:3], v243 offset:6000
	s_mov_b32 s10, 0x10000
	ds_write_b128 v243, v[14:17] offset:44000
	s_waitcnt vmcnt(0) lgkmcnt(1)
	v_mul_f64 v[14:15], v[2:3], v[12:13]
	v_mul_f64 v[16:17], v[0:1], v[12:13]
	v_add_co_u32_e32 v12, vcc, s10, v162
	v_fma_f64 v[14:15], v[0:1], v[10:11], -v[14:15]
	v_fmac_f64_e32 v[16:17], v[2:3], v[10:11]
	v_addc_co_u32_e32 v13, vcc, 0, v161, vcc
	ds_write_b128 v243, v[14:17] offset:6000
	global_load_dwordx4 v[14:17], v[12:13], off offset:464
	ds_read_b128 v[0:3], v243 offset:16000
	s_mov_b32 s10, 0x17000
	s_waitcnt vmcnt(0) lgkmcnt(0)
	v_mul_f64 v[10:11], v[2:3], v[16:17]
	v_mul_f64 v[20:21], v[0:1], v[16:17]
	v_fma_f64 v[18:19], v[0:1], v[14:15], -v[10:11]
	v_fmac_f64_e32 v[20:21], v[2:3], v[14:15]
	global_load_dwordx4 v[14:17], v[24:25], off offset:2272
	ds_read_b128 v[0:3], v243 offset:26000
	ds_write_b128 v243, v[18:21] offset:16000
	s_waitcnt vmcnt(0) lgkmcnt(1)
	v_mul_f64 v[10:11], v[2:3], v[16:17]
	v_mul_f64 v[20:21], v[0:1], v[16:17]
	v_fma_f64 v[18:19], v[0:1], v[14:15], -v[10:11]
	v_fmac_f64_e32 v[20:21], v[2:3], v[14:15]
	global_load_dwordx4 v[14:17], v[22:23], off offset:4080
	ds_read_b128 v[0:3], v243 offset:36000
	ds_write_b128 v243, v[18:21] offset:26000
	s_waitcnt vmcnt(0) lgkmcnt(1)
	v_mul_f64 v[10:11], v[2:3], v[16:17]
	v_fma_f64 v[18:19], v[0:1], v[14:15], -v[10:11]
	v_add_co_u32_e32 v10, vcc, s10, v162
	v_mul_f64 v[20:21], v[0:1], v[16:17]
	v_addc_co_u32_e32 v11, vcc, 0, v161, vcc
	v_fmac_f64_e32 v[20:21], v[2:3], v[14:15]
	global_load_dwordx4 v[14:17], v[10:11], off offset:1792
	ds_read_b128 v[0:3], v243 offset:46000
	ds_write_b128 v243, v[18:21] offset:36000
	s_waitcnt vmcnt(0) lgkmcnt(1)
	v_mul_f64 v[18:19], v[2:3], v[16:17]
	v_mul_f64 v[20:21], v[0:1], v[16:17]
	v_fma_f64 v[18:19], v[0:1], v[14:15], -v[18:19]
	v_fmac_f64_e32 v[20:21], v[2:3], v[14:15]
	global_load_dwordx4 v[14:17], v[8:9], off offset:656
	ds_read_b128 v[0:3], v243 offset:8000
	ds_write_b128 v243, v[18:21] offset:46000
	s_waitcnt vmcnt(0) lgkmcnt(1)
	v_mul_f64 v[8:9], v[2:3], v[16:17]
	v_mul_f64 v[20:21], v[0:1], v[16:17]
	v_fma_f64 v[18:19], v[0:1], v[14:15], -v[8:9]
	v_fmac_f64_e32 v[20:21], v[2:3], v[14:15]
	global_load_dwordx4 v[12:15], v[12:13], off offset:2464
	ds_read_b128 v[0:3], v243 offset:18000
	ds_write_b128 v243, v[18:21] offset:8000
	s_waitcnt vmcnt(0) lgkmcnt(1)
	v_mul_f64 v[8:9], v[2:3], v[14:15]
	v_fma_f64 v[16:17], v[0:1], v[12:13], -v[8:9]
	global_load_dwordx4 v[6:9], v[6:7], off offset:176
	v_mul_f64 v[18:19], v[0:1], v[14:15]
	v_fmac_f64_e32 v[18:19], v[2:3], v[12:13]
	ds_read_b128 v[0:3], v243 offset:28000
	ds_write_b128 v243, v[16:19] offset:18000
	s_waitcnt vmcnt(0) lgkmcnt(1)
	v_mul_f64 v[12:13], v[2:3], v[8:9]
	v_mul_f64 v[14:15], v[0:1], v[8:9]
	v_fma_f64 v[12:13], v[0:1], v[6:7], -v[12:13]
	v_fmac_f64_e32 v[14:15], v[2:3], v[6:7]
	global_load_dwordx4 v[4:7], v[4:5], off offset:1984
	ds_read_b128 v[0:3], v243 offset:38000
	ds_write_b128 v243, v[12:15] offset:28000
	s_waitcnt vmcnt(0) lgkmcnt(1)
	v_mul_f64 v[8:9], v[2:3], v[6:7]
	v_mul_f64 v[14:15], v[0:1], v[6:7]
	v_fma_f64 v[12:13], v[0:1], v[4:5], -v[8:9]
	v_fmac_f64_e32 v[14:15], v[2:3], v[4:5]
	global_load_dwordx4 v[4:7], v[10:11], off offset:3792
	ds_read_b128 v[0:3], v243 offset:48000
	ds_write_b128 v243, v[12:15] offset:38000
	s_waitcnt vmcnt(0) lgkmcnt(1)
	v_mul_f64 v[8:9], v[2:3], v[6:7]
	v_mul_f64 v[10:11], v[0:1], v[6:7]
	v_fma_f64 v[8:9], v[0:1], v[4:5], -v[8:9]
	v_fmac_f64_e32 v[10:11], v[2:3], v[4:5]
	ds_write_b128 v243, v[8:11] offset:48000
	s_waitcnt lgkmcnt(0)
	s_barrier
	ds_read_b128 v[16:19], v243
	ds_read_b128 v[76:79], v243 offset:10000
	ds_read_b128 v[108:111], v243 offset:20000
	;; [unrolled: 1-line block ×24, first 2 shown]
	s_waitcnt lgkmcnt(14)
	v_add_f64 v[36:37], v[16:17], v[76:77]
	v_add_f64 v[36:37], v[36:37], v[108:109]
	;; [unrolled: 1-line block ×5, first 2 shown]
	v_fma_f64 v[36:37], -0.5, v[36:37], v[16:17]
	v_add_f64 v[38:39], v[78:79], -v[74:75]
	v_fma_f64 v[44:45], s[14:15], v[38:39], v[36:37]
	v_add_f64 v[42:43], v[110:111], -v[70:71]
	v_add_f64 v[40:41], v[76:77], -v[108:109]
	v_add_f64 v[46:47], v[72:73], -v[68:69]
	v_fmac_f64_e32 v[36:37], s[2:3], v[38:39]
	v_fmac_f64_e32 v[44:45], s[8:9], v[42:43]
	v_add_f64 v[40:41], v[40:41], v[46:47]
	v_fmac_f64_e32 v[36:37], s[6:7], v[42:43]
	v_fmac_f64_e32 v[44:45], s[4:5], v[40:41]
	;; [unrolled: 1-line block ×3, first 2 shown]
	v_add_f64 v[40:41], v[76:77], v[72:73]
	v_fmac_f64_e32 v[16:17], -0.5, v[40:41]
	v_fma_f64 v[40:41], s[2:3], v[42:43], v[16:17]
	v_fmac_f64_e32 v[16:17], s[14:15], v[42:43]
	v_fmac_f64_e32 v[40:41], s[8:9], v[38:39]
	v_fmac_f64_e32 v[16:17], s[6:7], v[38:39]
	v_add_f64 v[38:39], v[18:19], v[78:79]
	v_add_f64 v[38:39], v[38:39], v[110:111]
	v_add_f64 v[46:47], v[108:109], -v[76:77]
	v_add_f64 v[114:115], v[68:69], -v[72:73]
	v_add_f64 v[38:39], v[38:39], v[70:71]
	v_add_f64 v[46:47], v[46:47], v[114:115]
	v_add_f64 v[114:115], v[38:39], v[74:75]
	v_add_f64 v[38:39], v[110:111], v[70:71]
	v_fma_f64 v[38:39], -0.5, v[38:39], v[18:19]
	v_add_f64 v[72:73], v[76:77], -v[72:73]
	v_fmac_f64_e32 v[40:41], s[4:5], v[46:47]
	v_fmac_f64_e32 v[16:17], s[4:5], v[46:47]
	v_fma_f64 v[46:47], s[2:3], v[72:73], v[38:39]
	v_add_f64 v[68:69], v[108:109], -v[68:69]
	v_add_f64 v[42:43], v[78:79], -v[110:111]
	;; [unrolled: 1-line block ×3, first 2 shown]
	v_fmac_f64_e32 v[38:39], s[14:15], v[72:73]
	v_fmac_f64_e32 v[46:47], s[6:7], v[68:69]
	v_add_f64 v[42:43], v[42:43], v[76:77]
	v_fmac_f64_e32 v[38:39], s[8:9], v[68:69]
	v_fmac_f64_e32 v[46:47], s[4:5], v[42:43]
	;; [unrolled: 1-line block ×3, first 2 shown]
	v_add_f64 v[42:43], v[78:79], v[74:75]
	v_fmac_f64_e32 v[18:19], -0.5, v[42:43]
	v_fma_f64 v[42:43], s[14:15], v[68:69], v[18:19]
	v_fmac_f64_e32 v[18:19], s[2:3], v[68:69]
	v_add_f64 v[68:69], v[12:13], v[84:85]
	v_add_f64 v[68:69], v[68:69], v[104:105]
	v_add_f64 v[76:77], v[110:111], -v[78:79]
	v_add_f64 v[70:71], v[70:71], -v[74:75]
	v_add_f64 v[68:69], v[68:69], v[0:1]
	v_fmac_f64_e32 v[42:43], s[6:7], v[72:73]
	v_add_f64 v[70:71], v[76:77], v[70:71]
	v_fmac_f64_e32 v[18:19], s[8:9], v[72:73]
	v_add_f64 v[108:109], v[68:69], v[20:21]
	v_add_f64 v[68:69], v[104:105], v[0:1]
	v_fmac_f64_e32 v[42:43], s[4:5], v[70:71]
	v_fmac_f64_e32 v[18:19], s[4:5], v[70:71]
	v_fma_f64 v[68:69], -0.5, v[68:69], v[12:13]
	v_add_f64 v[70:71], v[86:87], -v[22:23]
	v_fma_f64 v[76:77], s[14:15], v[70:71], v[68:69]
	v_add_f64 v[74:75], v[106:107], -v[2:3]
	v_add_f64 v[72:73], v[84:85], -v[104:105]
	;; [unrolled: 1-line block ×3, first 2 shown]
	v_fmac_f64_e32 v[68:69], s[2:3], v[70:71]
	v_fmac_f64_e32 v[76:77], s[8:9], v[74:75]
	v_add_f64 v[72:73], v[72:73], v[78:79]
	v_fmac_f64_e32 v[68:69], s[6:7], v[74:75]
	v_fmac_f64_e32 v[76:77], s[4:5], v[72:73]
	;; [unrolled: 1-line block ×3, first 2 shown]
	v_add_f64 v[72:73], v[84:85], v[20:21]
	v_fmac_f64_e32 v[12:13], -0.5, v[72:73]
	v_fma_f64 v[72:73], s[2:3], v[74:75], v[12:13]
	v_fmac_f64_e32 v[12:13], s[14:15], v[74:75]
	v_fmac_f64_e32 v[72:73], s[8:9], v[70:71]
	v_fmac_f64_e32 v[12:13], s[6:7], v[70:71]
	v_add_f64 v[70:71], v[14:15], v[86:87]
	v_add_f64 v[70:71], v[70:71], v[106:107]
	v_add_f64 v[78:79], v[104:105], -v[84:85]
	v_add_f64 v[110:111], v[0:1], -v[20:21]
	v_add_f64 v[70:71], v[70:71], v[2:3]
	v_add_f64 v[78:79], v[78:79], v[110:111]
	;; [unrolled: 1-line block ×4, first 2 shown]
	v_fma_f64 v[70:71], -0.5, v[70:71], v[14:15]
	v_add_f64 v[20:21], v[84:85], -v[20:21]
	v_fmac_f64_e32 v[72:73], s[4:5], v[78:79]
	v_fmac_f64_e32 v[12:13], s[4:5], v[78:79]
	v_fma_f64 v[78:79], s[2:3], v[20:21], v[70:71]
	v_add_f64 v[0:1], v[104:105], -v[0:1]
	v_add_f64 v[74:75], v[86:87], -v[106:107]
	v_add_f64 v[84:85], v[22:23], -v[2:3]
	v_fmac_f64_e32 v[70:71], s[14:15], v[20:21]
	v_fmac_f64_e32 v[78:79], s[6:7], v[0:1]
	v_add_f64 v[74:75], v[74:75], v[84:85]
	v_fmac_f64_e32 v[70:71], s[8:9], v[0:1]
	v_fmac_f64_e32 v[78:79], s[4:5], v[74:75]
	;; [unrolled: 1-line block ×3, first 2 shown]
	v_add_f64 v[74:75], v[86:87], v[22:23]
	v_fmac_f64_e32 v[14:15], -0.5, v[74:75]
	v_fma_f64 v[74:75], s[14:15], v[0:1], v[14:15]
	v_fmac_f64_e32 v[14:15], s[2:3], v[0:1]
	s_waitcnt lgkmcnt(13)
	v_add_f64 v[0:1], v[8:9], v[96:97]
	s_waitcnt lgkmcnt(12)
	v_add_f64 v[0:1], v[0:1], v[28:29]
	v_add_f64 v[84:85], v[106:107], -v[86:87]
	v_add_f64 v[2:3], v[2:3], -v[22:23]
	s_waitcnt lgkmcnt(11)
	v_add_f64 v[0:1], v[0:1], v[88:89]
	v_fmac_f64_e32 v[74:75], s[6:7], v[20:21]
	v_add_f64 v[2:3], v[84:85], v[2:3]
	v_fmac_f64_e32 v[14:15], s[8:9], v[20:21]
	s_waitcnt lgkmcnt(10)
	v_add_f64 v[104:105], v[0:1], v[92:93]
	v_add_f64 v[0:1], v[28:29], v[88:89]
	v_fmac_f64_e32 v[74:75], s[4:5], v[2:3]
	v_fmac_f64_e32 v[14:15], s[4:5], v[2:3]
	v_fma_f64 v[84:85], -0.5, v[0:1], v[8:9]
	v_add_f64 v[2:3], v[98:99], -v[94:95]
	v_fma_f64 v[0:1], s[14:15], v[2:3], v[84:85]
	v_add_f64 v[22:23], v[30:31], -v[90:91]
	v_add_f64 v[20:21], v[96:97], -v[28:29]
	;; [unrolled: 1-line block ×3, first 2 shown]
	v_fmac_f64_e32 v[84:85], s[2:3], v[2:3]
	v_fmac_f64_e32 v[0:1], s[8:9], v[22:23]
	v_add_f64 v[20:21], v[20:21], v[86:87]
	v_fmac_f64_e32 v[84:85], s[6:7], v[22:23]
	v_fmac_f64_e32 v[0:1], s[4:5], v[20:21]
	;; [unrolled: 1-line block ×3, first 2 shown]
	v_add_f64 v[20:21], v[96:97], v[92:93]
	v_fmac_f64_e32 v[8:9], -0.5, v[20:21]
	v_fma_f64 v[20:21], s[2:3], v[22:23], v[8:9]
	v_fmac_f64_e32 v[8:9], s[14:15], v[22:23]
	v_fmac_f64_e32 v[20:21], s[8:9], v[2:3]
	;; [unrolled: 1-line block ×3, first 2 shown]
	v_add_f64 v[2:3], v[10:11], v[98:99]
	v_add_f64 v[2:3], v[2:3], v[30:31]
	v_add_f64 v[86:87], v[28:29], -v[96:97]
	v_add_f64 v[106:107], v[88:89], -v[92:93]
	v_add_f64 v[2:3], v[2:3], v[90:91]
	v_add_f64 v[86:87], v[86:87], v[106:107]
	;; [unrolled: 1-line block ×4, first 2 shown]
	v_fmac_f64_e32 v[20:21], s[4:5], v[86:87]
	v_fmac_f64_e32 v[8:9], s[4:5], v[86:87]
	v_fma_f64 v[86:87], -0.5, v[2:3], v[10:11]
	v_add_f64 v[92:93], v[96:97], -v[92:93]
	v_fma_f64 v[2:3], s[2:3], v[92:93], v[86:87]
	v_add_f64 v[28:29], v[28:29], -v[88:89]
	v_add_f64 v[22:23], v[98:99], -v[30:31]
	;; [unrolled: 1-line block ×3, first 2 shown]
	v_fmac_f64_e32 v[86:87], s[14:15], v[92:93]
	v_fmac_f64_e32 v[2:3], s[6:7], v[28:29]
	v_add_f64 v[22:23], v[22:23], v[88:89]
	v_fmac_f64_e32 v[86:87], s[8:9], v[28:29]
	v_fmac_f64_e32 v[2:3], s[4:5], v[22:23]
	;; [unrolled: 1-line block ×3, first 2 shown]
	v_add_f64 v[22:23], v[98:99], v[94:95]
	v_fmac_f64_e32 v[10:11], -0.5, v[22:23]
	v_fma_f64 v[22:23], s[14:15], v[28:29], v[10:11]
	v_fmac_f64_e32 v[10:11], s[2:3], v[28:29]
	s_waitcnt lgkmcnt(8)
	v_add_f64 v[28:29], v[4:5], v[60:61]
	s_waitcnt lgkmcnt(7)
	v_add_f64 v[28:29], v[28:29], v[64:65]
	v_add_f64 v[30:31], v[30:31], -v[98:99]
	v_add_f64 v[88:89], v[90:91], -v[94:95]
	s_waitcnt lgkmcnt(6)
	v_add_f64 v[28:29], v[28:29], v[48:49]
	v_fmac_f64_e32 v[22:23], s[6:7], v[92:93]
	v_add_f64 v[30:31], v[30:31], v[88:89]
	v_fmac_f64_e32 v[10:11], s[8:9], v[92:93]
	s_waitcnt lgkmcnt(5)
	v_add_f64 v[96:97], v[28:29], v[52:53]
	v_add_f64 v[28:29], v[64:65], v[48:49]
	v_fmac_f64_e32 v[22:23], s[4:5], v[30:31]
	v_fmac_f64_e32 v[10:11], s[4:5], v[30:31]
	v_fma_f64 v[28:29], -0.5, v[28:29], v[4:5]
	v_add_f64 v[30:31], v[62:63], -v[54:55]
	v_fma_f64 v[92:93], s[14:15], v[30:31], v[28:29]
	v_add_f64 v[90:91], v[66:67], -v[50:51]
	v_add_f64 v[88:89], v[60:61], -v[64:65]
	;; [unrolled: 1-line block ×3, first 2 shown]
	v_fmac_f64_e32 v[28:29], s[2:3], v[30:31]
	v_fmac_f64_e32 v[92:93], s[8:9], v[90:91]
	v_add_f64 v[88:89], v[88:89], v[94:95]
	v_fmac_f64_e32 v[28:29], s[6:7], v[90:91]
	v_fmac_f64_e32 v[92:93], s[4:5], v[88:89]
	;; [unrolled: 1-line block ×3, first 2 shown]
	v_add_f64 v[88:89], v[60:61], v[52:53]
	v_fmac_f64_e32 v[4:5], -0.5, v[88:89]
	v_fma_f64 v[88:89], s[2:3], v[90:91], v[4:5]
	v_fmac_f64_e32 v[4:5], s[14:15], v[90:91]
	v_fmac_f64_e32 v[88:89], s[8:9], v[30:31]
	;; [unrolled: 1-line block ×3, first 2 shown]
	v_add_f64 v[30:31], v[6:7], v[62:63]
	v_add_f64 v[30:31], v[30:31], v[66:67]
	v_add_f64 v[94:95], v[64:65], -v[60:61]
	v_add_f64 v[98:99], v[48:49], -v[52:53]
	v_add_f64 v[30:31], v[30:31], v[50:51]
	v_add_f64 v[94:95], v[94:95], v[98:99]
	;; [unrolled: 1-line block ×4, first 2 shown]
	v_fma_f64 v[30:31], -0.5, v[30:31], v[6:7]
	v_add_f64 v[52:53], v[60:61], -v[52:53]
	v_fmac_f64_e32 v[88:89], s[4:5], v[94:95]
	v_fmac_f64_e32 v[4:5], s[4:5], v[94:95]
	v_fma_f64 v[94:95], s[2:3], v[52:53], v[30:31]
	v_add_f64 v[48:49], v[64:65], -v[48:49]
	v_add_f64 v[60:61], v[62:63], -v[66:67]
	;; [unrolled: 1-line block ×3, first 2 shown]
	v_fmac_f64_e32 v[30:31], s[14:15], v[52:53]
	v_fmac_f64_e32 v[94:95], s[6:7], v[48:49]
	v_add_f64 v[60:61], v[60:61], v[64:65]
	v_fmac_f64_e32 v[30:31], s[8:9], v[48:49]
	v_fmac_f64_e32 v[94:95], s[4:5], v[60:61]
	;; [unrolled: 1-line block ×3, first 2 shown]
	v_add_f64 v[60:61], v[62:63], v[54:55]
	v_fmac_f64_e32 v[6:7], -0.5, v[60:61]
	v_fma_f64 v[90:91], s[14:15], v[48:49], v[6:7]
	v_fmac_f64_e32 v[6:7], s[2:3], v[48:49]
	s_waitcnt lgkmcnt(3)
	v_add_f64 v[48:49], v[24:25], v[56:57]
	s_waitcnt lgkmcnt(2)
	v_add_f64 v[48:49], v[48:49], v[32:33]
	v_add_f64 v[60:61], v[66:67], -v[62:63]
	v_add_f64 v[50:51], v[50:51], -v[54:55]
	s_waitcnt lgkmcnt(1)
	v_add_f64 v[48:49], v[48:49], v[100:101]
	v_fmac_f64_e32 v[90:91], s[6:7], v[52:53]
	v_add_f64 v[50:51], v[60:61], v[50:51]
	v_fmac_f64_e32 v[6:7], s[8:9], v[52:53]
	s_waitcnt lgkmcnt(0)
	v_add_f64 v[64:65], v[48:49], v[80:81]
	v_add_f64 v[48:49], v[32:33], v[100:101]
	v_fmac_f64_e32 v[90:91], s[4:5], v[50:51]
	v_fmac_f64_e32 v[6:7], s[4:5], v[50:51]
	v_fma_f64 v[48:49], -0.5, v[48:49], v[24:25]
	v_add_f64 v[50:51], v[58:59], -v[82:83]
	v_fma_f64 v[60:61], s[14:15], v[50:51], v[48:49]
	v_add_f64 v[54:55], v[34:35], -v[102:103]
	v_add_f64 v[52:53], v[56:57], -v[32:33]
	;; [unrolled: 1-line block ×3, first 2 shown]
	v_fmac_f64_e32 v[48:49], s[2:3], v[50:51]
	v_fmac_f64_e32 v[60:61], s[8:9], v[54:55]
	v_add_f64 v[52:53], v[52:53], v[62:63]
	v_fmac_f64_e32 v[48:49], s[6:7], v[54:55]
	v_fmac_f64_e32 v[60:61], s[4:5], v[52:53]
	;; [unrolled: 1-line block ×3, first 2 shown]
	v_add_f64 v[52:53], v[56:57], v[80:81]
	v_fmac_f64_e32 v[24:25], -0.5, v[52:53]
	v_fma_f64 v[52:53], s[2:3], v[54:55], v[24:25]
	v_fmac_f64_e32 v[24:25], s[14:15], v[54:55]
	v_fmac_f64_e32 v[52:53], s[8:9], v[50:51]
	;; [unrolled: 1-line block ×3, first 2 shown]
	v_add_f64 v[50:51], v[26:27], v[58:59]
	v_add_f64 v[50:51], v[50:51], v[34:35]
	v_add_f64 v[62:63], v[32:33], -v[56:57]
	v_add_f64 v[66:67], v[100:101], -v[80:81]
	v_add_f64 v[50:51], v[50:51], v[102:103]
	v_add_f64 v[62:63], v[62:63], v[66:67]
	;; [unrolled: 1-line block ×4, first 2 shown]
	v_fma_f64 v[50:51], -0.5, v[50:51], v[26:27]
	v_add_f64 v[56:57], v[56:57], -v[80:81]
	v_fmac_f64_e32 v[52:53], s[4:5], v[62:63]
	v_fmac_f64_e32 v[24:25], s[4:5], v[62:63]
	v_fma_f64 v[62:63], s[2:3], v[56:57], v[50:51]
	v_add_f64 v[32:33], v[32:33], -v[100:101]
	v_add_f64 v[54:55], v[58:59], -v[34:35]
	;; [unrolled: 1-line block ×3, first 2 shown]
	v_fmac_f64_e32 v[50:51], s[14:15], v[56:57]
	v_fmac_f64_e32 v[62:63], s[6:7], v[32:33]
	v_add_f64 v[54:55], v[54:55], v[80:81]
	v_fmac_f64_e32 v[50:51], s[8:9], v[32:33]
	v_fmac_f64_e32 v[62:63], s[4:5], v[54:55]
	;; [unrolled: 1-line block ×3, first 2 shown]
	v_add_f64 v[54:55], v[58:59], v[82:83]
	v_fmac_f64_e32 v[26:27], -0.5, v[54:55]
	v_fma_f64 v[54:55], s[14:15], v[32:33], v[26:27]
	v_fmac_f64_e32 v[26:27], s[2:3], v[32:33]
	s_barrier
	buffer_load_dword v32, off, s[24:27], 0 offset:68 ; 4-byte Folded Reload
	s_waitcnt vmcnt(0)
	ds_write_b128 v32, v[112:115]
	ds_write_b128 v32, v[44:47] offset:16
	ds_write_b128 v32, v[40:43] offset:32
	ds_write_b128 v32, v[16:19] offset:48
	ds_write_b128 v32, v[36:39] offset:64
	buffer_load_dword v16, off, s[24:27], 0 offset:64 ; 4-byte Folded Reload
	s_waitcnt vmcnt(0)
	ds_write_b128 v16, v[108:111]
	ds_write_b128 v16, v[76:79] offset:16
	ds_write_b128 v16, v[72:75] offset:32
	ds_write_b128 v16, v[12:15] offset:48
	ds_write_b128 v16, v[68:71] offset:64
	;; [unrolled: 7-line block ×4, first 2 shown]
	buffer_load_dword v0, off, s[24:27], 0 offset:4 ; 4-byte Folded Reload
	v_add_f64 v[34:35], v[34:35], -v[58:59]
	v_add_f64 v[58:59], v[102:103], -v[82:83]
	v_fmac_f64_e32 v[54:55], s[6:7], v[56:57]
	v_add_f64 v[34:35], v[34:35], v[58:59]
	v_fmac_f64_e32 v[26:27], s[8:9], v[56:57]
	v_accvgpr_read_b32 v104, a116
	v_fmac_f64_e32 v[54:55], s[4:5], v[34:35]
	v_fmac_f64_e32 v[26:27], s[4:5], v[34:35]
	v_accvgpr_read_b32 v106, a118
	v_accvgpr_read_b32 v107, a119
	s_waitcnt vmcnt(0)
	ds_write_b128 v0, v[64:67]
	ds_write_b128 v0, v[60:63] offset:16
	ds_write_b128 v0, v[52:55] offset:32
	;; [unrolled: 1-line block ×4, first 2 shown]
	s_waitcnt lgkmcnt(0)
	s_barrier
	ds_read_b128 v[16:19], v243
	ds_read_b128 v[96:99], v243 offset:10000
	ds_read_b128 v[92:95], v243 offset:20000
	;; [unrolled: 1-line block ×24, first 2 shown]
	v_accvgpr_read_b32 v105, a117
	s_waitcnt lgkmcnt(14)
	v_mul_f64 v[160:161], v[106:107], v[98:99]
	v_mul_f64 v[28:29], v[106:107], v[96:97]
	v_fmac_f64_e32 v[160:161], v[104:105], v[96:97]
	v_fma_f64 v[130:131], v[104:105], v[98:99], -v[28:29]
	v_accvgpr_read_b32 v96, a112
	v_accvgpr_read_b32 v98, a114
	;; [unrolled: 1-line block ×5, first 2 shown]
	v_mul_f64 v[162:163], v[98:99], v[94:95]
	v_mul_f64 v[28:29], v[98:99], v[92:93]
	v_accvgpr_read_b32 v106, a110
	v_accvgpr_read_b32 v107, a111
	v_fmac_f64_e32 v[162:163], v[96:97], v[92:93]
	v_fma_f64 v[94:95], v[96:97], v[94:95], -v[28:29]
	v_accvgpr_read_b32 v105, a109
	v_mul_f64 v[96:97], v[106:107], v[90:91]
	v_mul_f64 v[28:29], v[106:107], v[88:89]
	v_fmac_f64_e32 v[96:97], v[104:105], v[88:89]
	v_fma_f64 v[30:31], v[104:105], v[90:91], -v[28:29]
	v_accvgpr_read_b32 v88, a104
	v_accvgpr_read_b32 v90, a106
	v_accvgpr_read_b32 v91, a107
	v_accvgpr_read_b32 v89, a105
	v_mul_f64 v[176:177], v[90:91], v[86:87]
	v_mul_f64 v[28:29], v[90:91], v[84:85]
	v_fmac_f64_e32 v[176:177], v[88:89], v[84:85]
	v_fma_f64 v[90:91], v[88:89], v[86:87], -v[28:29]
	v_accvgpr_read_b32 v84, a134
	v_accvgpr_read_b32 v86, a136
	v_accvgpr_read_b32 v87, a137
	;; [unrolled: 8-line block ×3, first 2 shown]
	v_accvgpr_read_b32 v81, a131
	v_mul_f64 v[28:29], v[82:83], v[78:79]
	v_fmac_f64_e32 v[28:29], v[80:81], v[76:77]
	v_mul_f64 v[76:77], v[82:83], v[76:77]
	v_fma_f64 v[76:77], v[80:81], v[78:79], -v[76:77]
	v_accvgpr_read_b32 v78, a126
	v_accvgpr_read_b32 v80, a128
	v_accvgpr_read_b32 v81, a129
	v_accvgpr_read_b32 v79, a127
	v_mul_f64 v[128:129], v[80:81], v[74:75]
	v_fmac_f64_e32 v[128:129], v[78:79], v[72:73]
	v_mul_f64 v[72:73], v[80:81], v[72:73]
	v_accvgpr_read_b32 v80, a122
	v_accvgpr_read_b32 v82, a124
	;; [unrolled: 1-line block ×3, first 2 shown]
	v_fma_f64 v[78:79], v[78:79], v[74:75], -v[72:73]
	v_accvgpr_read_b32 v81, a123
	v_mul_f64 v[74:75], v[82:83], v[70:71]
	v_fmac_f64_e32 v[74:75], v[80:81], v[68:69]
	v_mul_f64 v[68:69], v[82:83], v[68:69]
	v_fma_f64 v[88:89], v[80:81], v[70:71], -v[68:69]
	v_accvgpr_read_b32 v68, a150
	v_accvgpr_read_b32 v70, a152
	v_accvgpr_read_b32 v71, a153
	v_accvgpr_read_b32 v69, a151
	s_waitcnt lgkmcnt(13)
	v_mul_f64 v[114:115], v[70:71], v[66:67]
	v_fmac_f64_e32 v[114:115], v[68:69], v[64:65]
	v_mul_f64 v[64:65], v[70:71], v[64:65]
	v_fma_f64 v[84:85], v[68:69], v[66:67], -v[64:65]
	v_accvgpr_read_b32 v64, a146
	v_accvgpr_read_b32 v66, a148
	v_accvgpr_read_b32 v67, a149
	v_accvgpr_read_b32 v65, a147
	s_waitcnt lgkmcnt(12)
	;; [unrolled: 9-line block ×8, first 2 shown]
	v_mul_f64 v[42:43], v[46:47], v[38:39]
	s_waitcnt lgkmcnt(3)
	v_mul_f64 v[50:51], v[170:171], v[34:35]
	v_fmac_f64_e32 v[42:43], v[44:45], v[36:37]
	v_mul_f64 v[36:37], v[46:47], v[36:37]
	v_fmac_f64_e32 v[50:51], v[168:169], v[32:33]
	v_mul_f64 v[32:33], v[170:171], v[32:33]
	v_fma_f64 v[110:111], v[44:45], v[38:39], -v[36:37]
	v_fma_f64 v[70:71], v[168:169], v[34:35], -v[32:33]
	v_accvgpr_read_b32 v34, a172
	v_accvgpr_read_b32 v36, a174
	;; [unrolled: 1-line block ×4, first 2 shown]
	s_waitcnt lgkmcnt(2)
	v_mul_f64 v[66:67], v[36:37], v[102:103]
	v_mul_f64 v[32:33], v[36:37], v[100:101]
	v_fmac_f64_e32 v[66:67], v[34:35], v[100:101]
	v_fma_f64 v[98:99], v[34:35], v[102:103], -v[32:33]
	v_accvgpr_read_b32 v32, a176
	v_accvgpr_read_b32 v34, a178
	;; [unrolled: 1-line block ×4, first 2 shown]
	s_waitcnt lgkmcnt(1)
	v_mul_f64 v[104:105], v[34:35], v[26:27]
	v_fmac_f64_e32 v[104:105], v[32:33], v[24:25]
	v_mul_f64 v[24:25], v[34:35], v[24:25]
	v_fma_f64 v[100:101], v[32:33], v[26:27], -v[24:25]
	v_accvgpr_read_b32 v24, a180
	v_accvgpr_read_b32 v26, a182
	v_accvgpr_read_b32 v27, a183
	v_accvgpr_read_b32 v25, a181
	s_waitcnt lgkmcnt(0)
	v_mul_f64 v[106:107], v[26:27], v[2:3]
	v_fmac_f64_e32 v[106:107], v[24:25], v[0:1]
	v_mul_f64 v[0:1], v[26:27], v[0:1]
	v_fma_f64 v[102:103], v[24:25], v[2:3], -v[0:1]
	v_add_f64 v[0:1], v[16:17], v[160:161]
	v_add_f64 v[0:1], v[0:1], v[162:163]
	;; [unrolled: 1-line block ×5, first 2 shown]
	v_fma_f64 v[0:1], -0.5, v[0:1], v[16:17]
	v_add_f64 v[2:3], v[130:131], -v[90:91]
	v_fma_f64 v[24:25], s[14:15], v[2:3], v[0:1]
	v_add_f64 v[26:27], v[94:95], -v[30:31]
	v_add_f64 v[32:33], v[160:161], -v[162:163]
	;; [unrolled: 1-line block ×3, first 2 shown]
	v_fmac_f64_e32 v[0:1], s[2:3], v[2:3]
	v_fmac_f64_e32 v[24:25], s[8:9], v[26:27]
	v_add_f64 v[32:33], v[32:33], v[34:35]
	v_fmac_f64_e32 v[0:1], s[6:7], v[26:27]
	v_fmac_f64_e32 v[24:25], s[4:5], v[32:33]
	;; [unrolled: 1-line block ×3, first 2 shown]
	v_add_f64 v[32:33], v[160:161], v[176:177]
	v_fmac_f64_e32 v[16:17], -0.5, v[32:33]
	v_fma_f64 v[32:33], s[2:3], v[26:27], v[16:17]
	v_fmac_f64_e32 v[16:17], s[14:15], v[26:27]
	v_fmac_f64_e32 v[32:33], s[8:9], v[2:3]
	;; [unrolled: 1-line block ×3, first 2 shown]
	v_add_f64 v[2:3], v[18:19], v[130:131]
	v_add_f64 v[2:3], v[2:3], v[94:95]
	;; [unrolled: 1-line block ×3, first 2 shown]
	v_add_f64 v[34:35], v[162:163], -v[160:161]
	v_add_f64 v[36:37], v[96:97], -v[176:177]
	v_add_f64 v[134:135], v[2:3], v[90:91]
	v_add_f64 v[2:3], v[94:95], v[30:31]
	;; [unrolled: 1-line block ×3, first 2 shown]
	v_fma_f64 v[2:3], -0.5, v[2:3], v[18:19]
	v_add_f64 v[36:37], v[160:161], -v[176:177]
	v_fmac_f64_e32 v[32:33], s[4:5], v[34:35]
	v_fmac_f64_e32 v[16:17], s[4:5], v[34:35]
	v_fma_f64 v[26:27], s[2:3], v[36:37], v[2:3]
	v_add_f64 v[38:39], v[162:163], -v[96:97]
	v_add_f64 v[34:35], v[130:131], -v[94:95]
	;; [unrolled: 1-line block ×3, first 2 shown]
	v_fmac_f64_e32 v[2:3], s[14:15], v[36:37]
	v_fmac_f64_e32 v[26:27], s[6:7], v[38:39]
	v_add_f64 v[34:35], v[34:35], v[40:41]
	v_fmac_f64_e32 v[2:3], s[8:9], v[38:39]
	v_fmac_f64_e32 v[26:27], s[4:5], v[34:35]
	;; [unrolled: 1-line block ×3, first 2 shown]
	v_add_f64 v[34:35], v[130:131], v[90:91]
	v_fmac_f64_e32 v[18:19], -0.5, v[34:35]
	v_fma_f64 v[34:35], s[14:15], v[38:39], v[18:19]
	v_add_f64 v[40:41], v[94:95], -v[130:131]
	v_add_f64 v[30:31], v[30:31], -v[90:91]
	v_fmac_f64_e32 v[18:19], s[2:3], v[38:39]
	v_fmac_f64_e32 v[34:35], s[6:7], v[36:37]
	v_add_f64 v[30:31], v[40:41], v[30:31]
	v_fmac_f64_e32 v[18:19], s[8:9], v[36:37]
	v_fmac_f64_e32 v[34:35], s[4:5], v[30:31]
	;; [unrolled: 1-line block ×3, first 2 shown]
	v_add_f64 v[30:31], v[12:13], v[126:127]
	v_add_f64 v[30:31], v[30:31], v[28:29]
	;; [unrolled: 1-line block ×5, first 2 shown]
	v_fma_f64 v[60:61], -0.5, v[30:31], v[12:13]
	v_add_f64 v[30:31], v[124:125], -v[88:89]
	v_fma_f64 v[80:81], s[14:15], v[30:31], v[60:61]
	v_add_f64 v[36:37], v[76:77], -v[78:79]
	v_add_f64 v[38:39], v[126:127], -v[28:29]
	;; [unrolled: 1-line block ×3, first 2 shown]
	v_fmac_f64_e32 v[60:61], s[2:3], v[30:31]
	v_fmac_f64_e32 v[80:81], s[8:9], v[36:37]
	v_add_f64 v[38:39], v[38:39], v[40:41]
	v_fmac_f64_e32 v[60:61], s[6:7], v[36:37]
	v_fmac_f64_e32 v[80:81], s[4:5], v[38:39]
	;; [unrolled: 1-line block ×3, first 2 shown]
	v_add_f64 v[38:39], v[126:127], v[74:75]
	v_fmac_f64_e32 v[12:13], -0.5, v[38:39]
	v_fma_f64 v[72:73], s[2:3], v[36:37], v[12:13]
	v_fmac_f64_e32 v[12:13], s[14:15], v[36:37]
	v_fmac_f64_e32 v[72:73], s[8:9], v[30:31]
	;; [unrolled: 1-line block ×3, first 2 shown]
	v_add_f64 v[30:31], v[14:15], v[124:125]
	v_add_f64 v[30:31], v[30:31], v[76:77]
	v_add_f64 v[30:31], v[30:31], v[78:79]
	v_add_f64 v[38:39], v[28:29], -v[126:127]
	v_add_f64 v[40:41], v[128:129], -v[74:75]
	v_add_f64 v[162:163], v[30:31], v[88:89]
	v_add_f64 v[30:31], v[76:77], v[78:79]
	;; [unrolled: 1-line block ×3, first 2 shown]
	v_fma_f64 v[62:63], -0.5, v[30:31], v[14:15]
	v_add_f64 v[30:31], v[126:127], -v[74:75]
	v_fmac_f64_e32 v[72:73], s[4:5], v[38:39]
	v_fmac_f64_e32 v[12:13], s[4:5], v[38:39]
	v_fma_f64 v[82:83], s[2:3], v[30:31], v[62:63]
	v_add_f64 v[28:29], v[28:29], -v[128:129]
	v_add_f64 v[36:37], v[124:125], -v[76:77]
	;; [unrolled: 1-line block ×3, first 2 shown]
	v_fmac_f64_e32 v[62:63], s[14:15], v[30:31]
	v_fmac_f64_e32 v[82:83], s[6:7], v[28:29]
	v_add_f64 v[36:37], v[36:37], v[38:39]
	v_fmac_f64_e32 v[62:63], s[8:9], v[28:29]
	v_fmac_f64_e32 v[82:83], s[4:5], v[36:37]
	;; [unrolled: 1-line block ×3, first 2 shown]
	v_add_f64 v[36:37], v[124:125], v[88:89]
	v_fmac_f64_e32 v[14:15], -0.5, v[36:37]
	v_fma_f64 v[74:75], s[14:15], v[28:29], v[14:15]
	v_fmac_f64_e32 v[14:15], s[2:3], v[28:29]
	v_add_f64 v[28:29], v[8:9], v[114:115]
	v_add_f64 v[28:29], v[28:29], v[118:119]
	;; [unrolled: 1-line block ×3, first 2 shown]
	v_add_f64 v[36:37], v[76:77], -v[124:125]
	v_add_f64 v[38:39], v[78:79], -v[88:89]
	v_add_f64 v[76:77], v[28:29], v[58:59]
	v_add_f64 v[28:29], v[118:119], v[122:123]
	v_fmac_f64_e32 v[74:75], s[6:7], v[30:31]
	v_add_f64 v[36:37], v[36:37], v[38:39]
	v_fmac_f64_e32 v[14:15], s[8:9], v[30:31]
	v_fma_f64 v[44:45], -0.5, v[28:29], v[8:9]
	v_add_f64 v[28:29], v[84:85], -v[120:121]
	v_fmac_f64_e32 v[74:75], s[4:5], v[36:37]
	v_fmac_f64_e32 v[14:15], s[4:5], v[36:37]
	v_fma_f64 v[56:57], s[14:15], v[28:29], v[44:45]
	v_add_f64 v[30:31], v[86:87], -v[116:117]
	v_add_f64 v[36:37], v[114:115], -v[118:119]
	;; [unrolled: 1-line block ×3, first 2 shown]
	v_fmac_f64_e32 v[44:45], s[2:3], v[28:29]
	v_fmac_f64_e32 v[56:57], s[8:9], v[30:31]
	v_add_f64 v[36:37], v[36:37], v[38:39]
	v_fmac_f64_e32 v[44:45], s[6:7], v[30:31]
	v_fmac_f64_e32 v[56:57], s[4:5], v[36:37]
	v_fmac_f64_e32 v[44:45], s[4:5], v[36:37]
	v_add_f64 v[36:37], v[114:115], v[58:59]
	v_fmac_f64_e32 v[8:9], -0.5, v[36:37]
	v_fma_f64 v[52:53], s[2:3], v[30:31], v[8:9]
	v_fmac_f64_e32 v[8:9], s[14:15], v[30:31]
	v_fmac_f64_e32 v[52:53], s[8:9], v[28:29]
	;; [unrolled: 1-line block ×3, first 2 shown]
	v_add_f64 v[28:29], v[10:11], v[84:85]
	v_add_f64 v[28:29], v[28:29], v[86:87]
	;; [unrolled: 1-line block ×3, first 2 shown]
	v_add_f64 v[36:37], v[118:119], -v[114:115]
	v_add_f64 v[38:39], v[122:123], -v[58:59]
	v_add_f64 v[78:79], v[28:29], v[120:121]
	v_add_f64 v[28:29], v[86:87], v[116:117]
	;; [unrolled: 1-line block ×3, first 2 shown]
	v_fma_f64 v[46:47], -0.5, v[28:29], v[10:11]
	v_add_f64 v[28:29], v[114:115], -v[58:59]
	v_fmac_f64_e32 v[52:53], s[4:5], v[36:37]
	v_fmac_f64_e32 v[8:9], s[4:5], v[36:37]
	v_fma_f64 v[58:59], s[2:3], v[28:29], v[46:47]
	v_add_f64 v[30:31], v[118:119], -v[122:123]
	v_add_f64 v[36:37], v[84:85], -v[86:87]
	;; [unrolled: 1-line block ×3, first 2 shown]
	v_fmac_f64_e32 v[46:47], s[14:15], v[28:29]
	v_fmac_f64_e32 v[58:59], s[6:7], v[30:31]
	v_add_f64 v[36:37], v[36:37], v[38:39]
	v_fmac_f64_e32 v[46:47], s[8:9], v[30:31]
	v_fmac_f64_e32 v[58:59], s[4:5], v[36:37]
	;; [unrolled: 1-line block ×3, first 2 shown]
	v_add_f64 v[36:37], v[84:85], v[120:121]
	v_fmac_f64_e32 v[10:11], -0.5, v[36:37]
	v_fma_f64 v[54:55], s[14:15], v[30:31], v[10:11]
	v_fmac_f64_e32 v[10:11], s[2:3], v[30:31]
	v_fmac_f64_e32 v[54:55], s[6:7], v[28:29]
	;; [unrolled: 1-line block ×3, first 2 shown]
	v_add_f64 v[28:29], v[4:5], v[92:93]
	v_add_f64 v[28:29], v[28:29], v[108:109]
	;; [unrolled: 1-line block ×3, first 2 shown]
	v_add_f64 v[36:37], v[86:87], -v[84:85]
	v_add_f64 v[38:39], v[116:117], -v[120:121]
	v_add_f64 v[84:85], v[28:29], v[42:43]
	v_add_f64 v[28:29], v[108:109], v[112:113]
	v_add_f64 v[36:37], v[36:37], v[38:39]
	v_fma_f64 v[28:29], -0.5, v[28:29], v[4:5]
	v_add_f64 v[30:31], v[68:69], -v[110:111]
	v_fmac_f64_e32 v[54:55], s[4:5], v[36:37]
	v_fmac_f64_e32 v[10:11], s[4:5], v[36:37]
	v_fma_f64 v[40:41], s[14:15], v[30:31], v[28:29]
	v_add_f64 v[38:39], v[64:65], -v[48:49]
	v_add_f64 v[36:37], v[92:93], -v[108:109]
	;; [unrolled: 1-line block ×3, first 2 shown]
	v_fmac_f64_e32 v[28:29], s[2:3], v[30:31]
	v_fmac_f64_e32 v[40:41], s[8:9], v[38:39]
	v_add_f64 v[36:37], v[36:37], v[86:87]
	v_fmac_f64_e32 v[28:29], s[6:7], v[38:39]
	v_fmac_f64_e32 v[40:41], s[4:5], v[36:37]
	;; [unrolled: 1-line block ×3, first 2 shown]
	v_add_f64 v[36:37], v[92:93], v[42:43]
	v_fmac_f64_e32 v[4:5], -0.5, v[36:37]
	v_fma_f64 v[36:37], s[2:3], v[38:39], v[4:5]
	v_fmac_f64_e32 v[4:5], s[14:15], v[38:39]
	v_fmac_f64_e32 v[36:37], s[8:9], v[30:31]
	;; [unrolled: 1-line block ×3, first 2 shown]
	v_add_f64 v[30:31], v[6:7], v[68:69]
	v_add_f64 v[86:87], v[108:109], -v[92:93]
	v_add_f64 v[88:89], v[112:113], -v[42:43]
	v_add_f64 v[30:31], v[30:31], v[64:65]
	v_add_f64 v[86:87], v[86:87], v[88:89]
	;; [unrolled: 1-line block ×3, first 2 shown]
	v_fmac_f64_e32 v[36:37], s[4:5], v[86:87]
	v_fmac_f64_e32 v[4:5], s[4:5], v[86:87]
	v_add_f64 v[86:87], v[30:31], v[110:111]
	v_add_f64 v[30:31], v[64:65], v[48:49]
	v_fma_f64 v[30:31], -0.5, v[30:31], v[6:7]
	v_add_f64 v[88:89], v[92:93], -v[42:43]
	v_fma_f64 v[42:43], s[2:3], v[88:89], v[30:31]
	v_add_f64 v[90:91], v[108:109], -v[112:113]
	v_add_f64 v[38:39], v[68:69], -v[64:65]
	;; [unrolled: 1-line block ×3, first 2 shown]
	v_fmac_f64_e32 v[30:31], s[14:15], v[88:89]
	v_fmac_f64_e32 v[42:43], s[6:7], v[90:91]
	v_add_f64 v[38:39], v[38:39], v[92:93]
	v_fmac_f64_e32 v[30:31], s[8:9], v[90:91]
	v_fmac_f64_e32 v[42:43], s[4:5], v[38:39]
	;; [unrolled: 1-line block ×3, first 2 shown]
	v_add_f64 v[38:39], v[68:69], v[110:111]
	v_fmac_f64_e32 v[6:7], -0.5, v[38:39]
	v_fma_f64 v[38:39], s[14:15], v[90:91], v[6:7]
	v_add_f64 v[64:65], v[64:65], -v[68:69]
	v_add_f64 v[48:49], v[48:49], -v[110:111]
	v_fmac_f64_e32 v[6:7], s[2:3], v[90:91]
	v_fmac_f64_e32 v[38:39], s[6:7], v[88:89]
	v_add_f64 v[48:49], v[64:65], v[48:49]
	v_fmac_f64_e32 v[6:7], s[8:9], v[88:89]
	v_fmac_f64_e32 v[38:39], s[4:5], v[48:49]
	;; [unrolled: 1-line block ×3, first 2 shown]
	v_add_f64 v[48:49], v[20:21], v[50:51]
	v_add_f64 v[48:49], v[48:49], v[66:67]
	;; [unrolled: 1-line block ×5, first 2 shown]
	v_fma_f64 v[168:169], -0.5, v[48:49], v[20:21]
	v_add_f64 v[68:69], v[70:71], -v[102:103]
	v_fma_f64 v[48:49], s[14:15], v[68:69], v[168:169]
	v_add_f64 v[88:89], v[98:99], -v[100:101]
	v_add_f64 v[64:65], v[50:51], -v[66:67]
	;; [unrolled: 1-line block ×3, first 2 shown]
	v_fmac_f64_e32 v[168:169], s[2:3], v[68:69]
	v_fmac_f64_e32 v[48:49], s[8:9], v[88:89]
	v_add_f64 v[64:65], v[64:65], v[90:91]
	v_fmac_f64_e32 v[168:169], s[6:7], v[88:89]
	v_fmac_f64_e32 v[48:49], s[4:5], v[64:65]
	;; [unrolled: 1-line block ×3, first 2 shown]
	v_add_f64 v[64:65], v[50:51], v[106:107]
	v_fmac_f64_e32 v[20:21], -0.5, v[64:65]
	v_fma_f64 v[64:65], s[2:3], v[88:89], v[20:21]
	v_fmac_f64_e32 v[20:21], s[14:15], v[88:89]
	v_fmac_f64_e32 v[64:65], s[8:9], v[68:69]
	;; [unrolled: 1-line block ×3, first 2 shown]
	v_add_f64 v[68:69], v[22:23], v[70:71]
	v_add_f64 v[68:69], v[68:69], v[98:99]
	v_add_f64 v[90:91], v[66:67], -v[50:51]
	v_add_f64 v[94:95], v[104:105], -v[106:107]
	v_add_f64 v[68:69], v[68:69], v[100:101]
	v_add_f64 v[90:91], v[90:91], v[94:95]
	;; [unrolled: 1-line block ×4, first 2 shown]
	v_fma_f64 v[170:171], -0.5, v[68:69], v[22:23]
	v_add_f64 v[68:69], v[50:51], -v[106:107]
	v_fmac_f64_e32 v[64:65], s[4:5], v[90:91]
	v_fmac_f64_e32 v[20:21], s[4:5], v[90:91]
	v_fma_f64 v[50:51], s[2:3], v[68:69], v[170:171]
	v_add_f64 v[88:89], v[66:67], -v[104:105]
	v_add_f64 v[66:67], v[70:71], -v[98:99]
	;; [unrolled: 1-line block ×3, first 2 shown]
	v_fmac_f64_e32 v[170:171], s[14:15], v[68:69]
	v_fmac_f64_e32 v[50:51], s[6:7], v[88:89]
	v_add_f64 v[66:67], v[66:67], v[90:91]
	v_fmac_f64_e32 v[170:171], s[8:9], v[88:89]
	v_fmac_f64_e32 v[50:51], s[4:5], v[66:67]
	;; [unrolled: 1-line block ×3, first 2 shown]
	v_add_f64 v[66:67], v[70:71], v[102:103]
	v_fmac_f64_e32 v[22:23], -0.5, v[66:67]
	v_fma_f64 v[66:67], s[14:15], v[88:89], v[22:23]
	v_fmac_f64_e32 v[22:23], s[2:3], v[88:89]
	v_fmac_f64_e32 v[66:67], s[6:7], v[68:69]
	;; [unrolled: 1-line block ×3, first 2 shown]
	s_barrier
	buffer_load_dword v68, off, s[24:27], 0 offset:72 ; 4-byte Folded Reload
	s_waitcnt vmcnt(0)
	ds_write_b128 v68, v[132:135]
	ds_write_b128 v68, v[24:27] offset:80
	ds_write_b128 v68, v[32:35] offset:160
	;; [unrolled: 1-line block ×4, first 2 shown]
	buffer_load_dword v0, off, s[24:27], 0 offset:76 ; 4-byte Folded Reload
	s_waitcnt vmcnt(0)
	ds_write_b128 v0, v[160:163]
	ds_write_b128 v0, v[80:83] offset:80
	ds_write_b128 v0, v[72:75] offset:160
	;; [unrolled: 1-line block ×4, first 2 shown]
	v_accvgpr_read_b32 v0, a255
	ds_write_b128 v0, v[76:79]
	ds_write_b128 v0, v[56:59] offset:80
	ds_write_b128 v0, v[52:55] offset:160
	;; [unrolled: 1-line block ×4, first 2 shown]
	v_accvgpr_read_b32 v0, a254
	ds_write_b128 v0, v[84:87]
	ds_write_b128 v0, v[40:43] offset:80
	ds_write_b128 v0, v[36:39] offset:160
	;; [unrolled: 1-line block ×4, first 2 shown]
	buffer_load_dword v0, off, s[24:27], 0 offset:144 ; 4-byte Folded Reload
	v_add_f64 v[70:71], v[98:99], -v[70:71]
	v_add_f64 v[90:91], v[100:101], -v[102:103]
	v_add_f64 v[70:71], v[70:71], v[90:91]
	v_fmac_f64_e32 v[22:23], s[4:5], v[70:71]
	v_fmac_f64_e32 v[66:67], s[4:5], v[70:71]
	s_waitcnt vmcnt(0)
	ds_write_b128 v0, v[92:95]
	ds_write_b128 v0, v[48:51] offset:80
	ds_write_b128 v0, v[64:67] offset:160
	;; [unrolled: 1-line block ×4, first 2 shown]
	v_accvgpr_read_b32 v20, a188
	v_accvgpr_read_b32 v22, a190
	;; [unrolled: 1-line block ×3, first 2 shown]
	s_waitcnt lgkmcnt(0)
	s_barrier
	ds_read_b128 v[16:19], v243
	ds_read_b128 v[96:99], v243 offset:10000
	ds_read_b128 v[92:95], v243 offset:20000
	;; [unrolled: 1-line block ×24, first 2 shown]
	v_accvgpr_read_b32 v21, a189
	s_waitcnt lgkmcnt(14)
	v_mul_f64 v[130:131], v[22:23], v[98:99]
	v_mul_f64 v[0:1], v[22:23], v[96:97]
	v_fmac_f64_e32 v[130:131], v[20:21], v[96:97]
	v_fma_f64 v[128:129], v[20:21], v[98:99], -v[0:1]
	v_accvgpr_read_b32 v20, a200
	v_accvgpr_read_b32 v22, a202
	v_accvgpr_read_b32 v23, a203
	v_accvgpr_read_b32 v21, a201
	v_mul_f64 v[132:133], v[22:23], v[94:95]
	v_mul_f64 v[0:1], v[22:23], v[92:93]
	v_fmac_f64_e32 v[132:133], v[20:21], v[92:93]
	v_fma_f64 v[134:135], v[20:21], v[94:95], -v[0:1]
	v_accvgpr_read_b32 v20, a196
	v_accvgpr_read_b32 v22, a198
	v_accvgpr_read_b32 v23, a199
	v_accvgpr_read_b32 v21, a197
	;; [unrolled: 8-line block ×8, first 2 shown]
	s_waitcnt lgkmcnt(13)
	v_mul_f64 v[124:125], v[70:71], v[66:67]
	v_mul_f64 v[0:1], v[70:71], v[64:65]
	v_fmac_f64_e32 v[124:125], v[68:69], v[64:65]
	v_fma_f64 v[120:121], v[68:69], v[66:67], -v[0:1]
	v_accvgpr_read_b32 v64, a226
	v_accvgpr_read_b32 v66, a228
	;; [unrolled: 1-line block ×4, first 2 shown]
	s_waitcnt lgkmcnt(12)
	v_mul_f64 v[0:1], v[66:67], v[62:63]
	v_mul_f64 v[20:21], v[66:67], v[60:61]
	v_fmac_f64_e32 v[0:1], v[64:65], v[60:61]
	v_fma_f64 v[122:123], v[64:65], v[62:63], -v[20:21]
	v_accvgpr_read_b32 v60, a230
	v_accvgpr_read_b32 v62, a232
	v_accvgpr_read_b32 v63, a233
	v_accvgpr_read_b32 v61, a231
	s_waitcnt lgkmcnt(11)
	v_mul_f64 v[20:21], v[62:63], v[58:59]
	v_fmac_f64_e32 v[20:21], v[60:61], v[56:57]
	v_mul_f64 v[56:57], v[62:63], v[56:57]
	v_fma_f64 v[126:127], v[60:61], v[58:59], -v[56:57]
	v_accvgpr_read_b32 v60, a234
	v_accvgpr_read_b32 v62, a236
	v_accvgpr_read_b32 v63, a237
	v_accvgpr_read_b32 v61, a235
	s_waitcnt lgkmcnt(10)
	v_mul_f64 v[58:59], v[62:63], v[54:55]
	v_fmac_f64_e32 v[58:59], v[60:61], v[52:53]
	v_mul_f64 v[52:53], v[62:63], v[52:53]
	;; [unrolled: 9-line block ×9, first 2 shown]
	v_fma_f64 v[98:99], v[28:29], v[26:27], -v[24:25]
	v_accvgpr_read_b32 v28, a40
	v_accvgpr_read_b32 v30, a42
	;; [unrolled: 1-line block ×4, first 2 shown]
	s_waitcnt lgkmcnt(0)
	v_mul_f64 v[24:25], v[30:31], v[168:169]
	v_fma_f64 v[102:103], v[28:29], v[170:171], -v[24:25]
	v_add_f64 v[24:25], v[16:17], v[130:131]
	v_add_f64 v[24:25], v[24:25], v[132:133]
	;; [unrolled: 1-line block ×3, first 2 shown]
	v_mul_f64 v[26:27], v[30:31], v[170:171]
	v_add_f64 v[136:137], v[24:25], v[176:177]
	v_add_f64 v[24:25], v[132:133], v[160:161]
	v_fmac_f64_e32 v[26:27], v[28:29], v[168:169]
	v_fma_f64 v[168:169], -0.5, v[24:25], v[16:17]
	v_add_f64 v[24:25], v[128:129], -v[2:3]
	v_fma_f64 v[80:81], s[14:15], v[24:25], v[168:169]
	v_add_f64 v[28:29], v[134:135], -v[162:163]
	v_add_f64 v[30:31], v[130:131], -v[132:133]
	;; [unrolled: 1-line block ×3, first 2 shown]
	v_fmac_f64_e32 v[168:169], s[2:3], v[24:25]
	v_fmac_f64_e32 v[80:81], s[8:9], v[28:29]
	v_add_f64 v[30:31], v[30:31], v[36:37]
	v_fmac_f64_e32 v[168:169], s[6:7], v[28:29]
	v_fmac_f64_e32 v[80:81], s[4:5], v[30:31]
	;; [unrolled: 1-line block ×3, first 2 shown]
	v_add_f64 v[30:31], v[130:131], v[176:177]
	v_fmac_f64_e32 v[16:17], -0.5, v[30:31]
	v_fma_f64 v[72:73], s[2:3], v[28:29], v[16:17]
	v_fmac_f64_e32 v[16:17], s[14:15], v[28:29]
	v_fmac_f64_e32 v[72:73], s[8:9], v[24:25]
	;; [unrolled: 1-line block ×3, first 2 shown]
	v_add_f64 v[24:25], v[18:19], v[128:129]
	v_add_f64 v[24:25], v[24:25], v[134:135]
	;; [unrolled: 1-line block ×3, first 2 shown]
	v_add_f64 v[30:31], v[132:133], -v[130:131]
	v_add_f64 v[36:37], v[160:161], -v[176:177]
	v_add_f64 v[138:139], v[24:25], v[2:3]
	v_add_f64 v[24:25], v[134:135], v[162:163]
	;; [unrolled: 1-line block ×3, first 2 shown]
	v_fma_f64 v[170:171], -0.5, v[24:25], v[18:19]
	v_add_f64 v[24:25], v[130:131], -v[176:177]
	v_fmac_f64_e32 v[72:73], s[4:5], v[30:31]
	v_fmac_f64_e32 v[16:17], s[4:5], v[30:31]
	v_fma_f64 v[82:83], s[2:3], v[24:25], v[170:171]
	v_add_f64 v[28:29], v[132:133], -v[160:161]
	v_add_f64 v[30:31], v[128:129], -v[134:135]
	;; [unrolled: 1-line block ×3, first 2 shown]
	v_fmac_f64_e32 v[170:171], s[14:15], v[24:25]
	v_fmac_f64_e32 v[82:83], s[6:7], v[28:29]
	v_add_f64 v[30:31], v[30:31], v[36:37]
	v_fmac_f64_e32 v[170:171], s[8:9], v[28:29]
	v_fmac_f64_e32 v[82:83], s[4:5], v[30:31]
	;; [unrolled: 1-line block ×3, first 2 shown]
	v_add_f64 v[30:31], v[128:129], v[2:3]
	v_fmac_f64_e32 v[18:19], -0.5, v[30:31]
	v_fma_f64 v[74:75], s[14:15], v[28:29], v[18:19]
	v_add_f64 v[30:31], v[134:135], -v[128:129]
	v_add_f64 v[2:3], v[162:163], -v[2:3]
	v_fmac_f64_e32 v[18:19], s[2:3], v[28:29]
	v_fmac_f64_e32 v[74:75], s[6:7], v[24:25]
	v_add_f64 v[2:3], v[30:31], v[2:3]
	v_fmac_f64_e32 v[18:19], s[8:9], v[24:25]
	v_fmac_f64_e32 v[74:75], s[4:5], v[2:3]
	;; [unrolled: 1-line block ×3, first 2 shown]
	v_add_f64 v[2:3], v[12:13], v[94:95]
	v_add_f64 v[2:3], v[2:3], v[86:87]
	;; [unrolled: 1-line block ×5, first 2 shown]
	v_fma_f64 v[60:61], -0.5, v[2:3], v[12:13]
	v_add_f64 v[2:3], v[92:93], -v[22:23]
	v_fma_f64 v[76:77], s[14:15], v[2:3], v[60:61]
	v_add_f64 v[24:25], v[88:89], -v[84:85]
	v_add_f64 v[28:29], v[94:95], -v[86:87]
	;; [unrolled: 1-line block ×3, first 2 shown]
	v_fmac_f64_e32 v[60:61], s[2:3], v[2:3]
	v_fmac_f64_e32 v[76:77], s[8:9], v[24:25]
	v_add_f64 v[28:29], v[28:29], v[30:31]
	v_fmac_f64_e32 v[60:61], s[6:7], v[24:25]
	v_fmac_f64_e32 v[76:77], s[4:5], v[28:29]
	;; [unrolled: 1-line block ×3, first 2 shown]
	v_add_f64 v[28:29], v[94:95], v[78:79]
	v_fmac_f64_e32 v[12:13], -0.5, v[28:29]
	v_fma_f64 v[68:69], s[2:3], v[24:25], v[12:13]
	v_fmac_f64_e32 v[12:13], s[14:15], v[24:25]
	v_fmac_f64_e32 v[68:69], s[8:9], v[2:3]
	;; [unrolled: 1-line block ×3, first 2 shown]
	v_add_f64 v[2:3], v[14:15], v[92:93]
	v_add_f64 v[2:3], v[2:3], v[88:89]
	;; [unrolled: 1-line block ×3, first 2 shown]
	v_add_f64 v[28:29], v[86:87], -v[94:95]
	v_add_f64 v[30:31], v[90:91], -v[78:79]
	v_add_f64 v[130:131], v[2:3], v[22:23]
	v_add_f64 v[2:3], v[88:89], v[84:85]
	;; [unrolled: 1-line block ×3, first 2 shown]
	v_fma_f64 v[62:63], -0.5, v[2:3], v[14:15]
	v_add_f64 v[2:3], v[94:95], -v[78:79]
	v_fmac_f64_e32 v[68:69], s[4:5], v[28:29]
	v_fmac_f64_e32 v[12:13], s[4:5], v[28:29]
	v_fma_f64 v[78:79], s[2:3], v[2:3], v[62:63]
	v_add_f64 v[24:25], v[86:87], -v[90:91]
	v_add_f64 v[28:29], v[92:93], -v[88:89]
	;; [unrolled: 1-line block ×3, first 2 shown]
	v_fmac_f64_e32 v[62:63], s[14:15], v[2:3]
	v_fmac_f64_e32 v[78:79], s[6:7], v[24:25]
	v_add_f64 v[28:29], v[28:29], v[30:31]
	v_fmac_f64_e32 v[62:63], s[8:9], v[24:25]
	v_fmac_f64_e32 v[78:79], s[4:5], v[28:29]
	;; [unrolled: 1-line block ×3, first 2 shown]
	v_add_f64 v[28:29], v[92:93], v[22:23]
	v_fmac_f64_e32 v[14:15], -0.5, v[28:29]
	v_fma_f64 v[70:71], s[14:15], v[24:25], v[14:15]
	v_fmac_f64_e32 v[14:15], s[2:3], v[24:25]
	v_fmac_f64_e32 v[70:71], s[6:7], v[2:3]
	;; [unrolled: 1-line block ×3, first 2 shown]
	v_add_f64 v[2:3], v[8:9], v[124:125]
	v_add_f64 v[2:3], v[2:3], v[0:1]
	;; [unrolled: 1-line block ×3, first 2 shown]
	v_add_f64 v[28:29], v[88:89], -v[92:93]
	v_add_f64 v[22:23], v[84:85], -v[22:23]
	v_add_f64 v[84:85], v[2:3], v[58:59]
	v_add_f64 v[2:3], v[0:1], v[20:21]
	;; [unrolled: 1-line block ×3, first 2 shown]
	v_fma_f64 v[44:45], -0.5, v[2:3], v[8:9]
	v_add_f64 v[2:3], v[120:121], -v[64:65]
	v_fmac_f64_e32 v[70:71], s[4:5], v[22:23]
	v_fmac_f64_e32 v[14:15], s[4:5], v[22:23]
	v_fma_f64 v[56:57], s[14:15], v[2:3], v[44:45]
	v_add_f64 v[22:23], v[122:123], -v[126:127]
	v_add_f64 v[24:25], v[124:125], -v[0:1]
	;; [unrolled: 1-line block ×3, first 2 shown]
	v_fmac_f64_e32 v[44:45], s[2:3], v[2:3]
	v_fmac_f64_e32 v[56:57], s[8:9], v[22:23]
	v_add_f64 v[24:25], v[24:25], v[28:29]
	v_fmac_f64_e32 v[44:45], s[6:7], v[22:23]
	v_fmac_f64_e32 v[56:57], s[4:5], v[24:25]
	v_fmac_f64_e32 v[44:45], s[4:5], v[24:25]
	v_add_f64 v[24:25], v[124:125], v[58:59]
	v_fmac_f64_e32 v[8:9], -0.5, v[24:25]
	v_fma_f64 v[52:53], s[2:3], v[22:23], v[8:9]
	v_fmac_f64_e32 v[8:9], s[14:15], v[22:23]
	v_fmac_f64_e32 v[52:53], s[8:9], v[2:3]
	v_fmac_f64_e32 v[8:9], s[6:7], v[2:3]
	v_add_f64 v[2:3], v[10:11], v[120:121]
	v_add_f64 v[2:3], v[2:3], v[122:123]
	;; [unrolled: 1-line block ×5, first 2 shown]
	v_fma_f64 v[46:47], -0.5, v[2:3], v[10:11]
	v_add_f64 v[2:3], v[124:125], -v[58:59]
	v_add_f64 v[24:25], v[0:1], -v[124:125]
	;; [unrolled: 1-line block ×3, first 2 shown]
	v_fma_f64 v[58:59], s[2:3], v[2:3], v[46:47]
	v_add_f64 v[0:1], v[0:1], -v[20:21]
	v_add_f64 v[20:21], v[120:121], -v[122:123]
	;; [unrolled: 1-line block ×3, first 2 shown]
	v_fmac_f64_e32 v[46:47], s[14:15], v[2:3]
	v_fmac_f64_e32 v[58:59], s[6:7], v[0:1]
	v_add_f64 v[20:21], v[20:21], v[22:23]
	v_fmac_f64_e32 v[46:47], s[8:9], v[0:1]
	v_fmac_f64_e32 v[58:59], s[4:5], v[20:21]
	;; [unrolled: 1-line block ×3, first 2 shown]
	v_add_f64 v[20:21], v[120:121], v[64:65]
	v_fmac_f64_e32 v[10:11], -0.5, v[20:21]
	v_fma_f64 v[54:55], s[14:15], v[0:1], v[10:11]
	v_fmac_f64_e32 v[10:11], s[2:3], v[0:1]
	v_add_f64 v[0:1], v[4:5], v[110:111]
	v_add_f64 v[0:1], v[0:1], v[114:115]
	;; [unrolled: 1-line block ×3, first 2 shown]
	v_add_f64 v[20:21], v[122:123], -v[120:121]
	v_add_f64 v[22:23], v[126:127], -v[64:65]
	v_add_f64 v[120:121], v[0:1], v[42:43]
	v_add_f64 v[0:1], v[114:115], v[118:119]
	;; [unrolled: 1-line block ×3, first 2 shown]
	v_fmac_f64_e32 v[54:55], s[6:7], v[2:3]
	v_add_f64 v[20:21], v[20:21], v[22:23]
	v_fmac_f64_e32 v[10:11], s[8:9], v[2:3]
	v_fma_f64 v[28:29], -0.5, v[0:1], v[4:5]
	v_add_f64 v[0:1], v[50:51], -v[116:117]
	v_fmac_f64_e32 v[54:55], s[4:5], v[20:21]
	v_fmac_f64_e32 v[10:11], s[4:5], v[20:21]
	v_fma_f64 v[40:41], s[14:15], v[0:1], v[28:29]
	v_add_f64 v[2:3], v[48:49], -v[112:113]
	v_add_f64 v[20:21], v[110:111], -v[114:115]
	;; [unrolled: 1-line block ×3, first 2 shown]
	v_fmac_f64_e32 v[28:29], s[2:3], v[0:1]
	v_fmac_f64_e32 v[40:41], s[8:9], v[2:3]
	v_add_f64 v[20:21], v[20:21], v[22:23]
	v_fmac_f64_e32 v[28:29], s[6:7], v[2:3]
	v_fmac_f64_e32 v[40:41], s[4:5], v[20:21]
	;; [unrolled: 1-line block ×3, first 2 shown]
	v_add_f64 v[20:21], v[110:111], v[42:43]
	v_fmac_f64_e32 v[4:5], -0.5, v[20:21]
	v_fma_f64 v[36:37], s[2:3], v[2:3], v[4:5]
	v_fmac_f64_e32 v[4:5], s[14:15], v[2:3]
	v_fmac_f64_e32 v[36:37], s[8:9], v[0:1]
	;; [unrolled: 1-line block ×3, first 2 shown]
	v_add_f64 v[0:1], v[6:7], v[50:51]
	v_add_f64 v[0:1], v[0:1], v[48:49]
	;; [unrolled: 1-line block ×3, first 2 shown]
	v_add_f64 v[20:21], v[114:115], -v[110:111]
	v_add_f64 v[22:23], v[118:119], -v[42:43]
	v_add_f64 v[122:123], v[0:1], v[116:117]
	v_add_f64 v[0:1], v[48:49], v[112:113]
	v_add_f64 v[20:21], v[20:21], v[22:23]
	v_fma_f64 v[30:31], -0.5, v[0:1], v[6:7]
	v_add_f64 v[0:1], v[110:111], -v[42:43]
	v_fmac_f64_e32 v[36:37], s[4:5], v[20:21]
	v_fmac_f64_e32 v[4:5], s[4:5], v[20:21]
	v_fma_f64 v[42:43], s[2:3], v[0:1], v[30:31]
	v_add_f64 v[2:3], v[114:115], -v[118:119]
	v_add_f64 v[20:21], v[50:51], -v[48:49]
	;; [unrolled: 1-line block ×3, first 2 shown]
	v_fmac_f64_e32 v[30:31], s[14:15], v[0:1]
	v_fmac_f64_e32 v[42:43], s[6:7], v[2:3]
	v_add_f64 v[20:21], v[20:21], v[22:23]
	v_fmac_f64_e32 v[30:31], s[8:9], v[2:3]
	v_fmac_f64_e32 v[42:43], s[4:5], v[20:21]
	v_fmac_f64_e32 v[30:31], s[4:5], v[20:21]
	v_add_f64 v[20:21], v[50:51], v[116:117]
	v_fmac_f64_e32 v[6:7], -0.5, v[20:21]
	v_fma_f64 v[38:39], s[14:15], v[2:3], v[6:7]
	v_add_f64 v[20:21], v[48:49], -v[50:51]
	v_add_f64 v[22:23], v[112:113], -v[116:117]
	v_fmac_f64_e32 v[6:7], s[2:3], v[2:3]
	v_add_f64 v[2:3], v[100:101], v[104:105]
	v_fmac_f64_e32 v[38:39], s[6:7], v[0:1]
	v_add_f64 v[20:21], v[20:21], v[22:23]
	v_fmac_f64_e32 v[6:7], s[8:9], v[0:1]
	v_fma_f64 v[160:161], -0.5, v[2:3], v[106:107]
	v_add_f64 v[2:3], v[32:33], -v[102:103]
	v_fmac_f64_e32 v[52:53], s[4:5], v[24:25]
	v_fmac_f64_e32 v[8:9], s[4:5], v[24:25]
	;; [unrolled: 1-line block ×4, first 2 shown]
	v_fma_f64 v[24:25], s[14:15], v[2:3], v[160:161]
	v_add_f64 v[22:23], v[34:35], -v[98:99]
	v_add_f64 v[20:21], v[96:97], -v[100:101]
	;; [unrolled: 1-line block ×3, first 2 shown]
	v_fmac_f64_e32 v[160:161], s[2:3], v[2:3]
	v_fmac_f64_e32 v[24:25], s[8:9], v[22:23]
	v_add_f64 v[20:21], v[20:21], v[48:49]
	v_fmac_f64_e32 v[160:161], s[6:7], v[22:23]
	v_fmac_f64_e32 v[24:25], s[4:5], v[20:21]
	;; [unrolled: 1-line block ×3, first 2 shown]
	v_add_f64 v[20:21], v[96:97], v[26:27]
	v_add_f64 v[0:1], v[106:107], v[96:97]
	v_fmac_f64_e32 v[106:107], -0.5, v[20:21]
	v_fma_f64 v[20:21], s[2:3], v[22:23], v[106:107]
	v_add_f64 v[48:49], v[100:101], -v[96:97]
	v_add_f64 v[50:51], v[104:105], -v[26:27]
	v_fmac_f64_e32 v[106:107], s[14:15], v[22:23]
	v_add_f64 v[0:1], v[0:1], v[100:101]
	v_fmac_f64_e32 v[20:21], s[8:9], v[2:3]
	v_add_f64 v[48:49], v[48:49], v[50:51]
	;; [unrolled: 2-line block ×3, first 2 shown]
	v_add_f64 v[0:1], v[0:1], v[104:105]
	v_fmac_f64_e32 v[20:21], s[4:5], v[48:49]
	v_fmac_f64_e32 v[106:107], s[4:5], v[48:49]
	v_fma_f64 v[162:163], -0.5, v[22:23], v[108:109]
	v_add_f64 v[48:49], v[96:97], -v[26:27]
	v_add_f64 v[0:1], v[0:1], v[26:27]
	v_fma_f64 v[26:27], s[2:3], v[48:49], v[162:163]
	v_add_f64 v[50:51], v[100:101], -v[104:105]
	v_add_f64 v[22:23], v[32:33], -v[34:35]
	;; [unrolled: 1-line block ×3, first 2 shown]
	v_fmac_f64_e32 v[162:163], s[14:15], v[48:49]
	v_fmac_f64_e32 v[26:27], s[6:7], v[50:51]
	v_add_f64 v[22:23], v[22:23], v[64:65]
	v_fmac_f64_e32 v[162:163], s[8:9], v[50:51]
	v_fmac_f64_e32 v[26:27], s[4:5], v[22:23]
	;; [unrolled: 1-line block ×3, first 2 shown]
	v_add_f64 v[22:23], v[32:33], v[102:103]
	v_add_f64 v[2:3], v[108:109], v[32:33]
	v_fmac_f64_e32 v[108:109], -0.5, v[22:23]
	v_add_f64 v[2:3], v[2:3], v[34:35]
	v_fma_f64 v[22:23], s[14:15], v[50:51], v[108:109]
	v_add_f64 v[32:33], v[34:35], -v[32:33]
	v_add_f64 v[34:35], v[98:99], -v[102:103]
	v_fmac_f64_e32 v[108:109], s[2:3], v[50:51]
	v_fmac_f64_e32 v[22:23], s[6:7], v[48:49]
	v_add_f64 v[32:33], v[32:33], v[34:35]
	v_fmac_f64_e32 v[108:109], s[8:9], v[48:49]
	v_fmac_f64_e32 v[22:23], s[4:5], v[32:33]
	;; [unrolled: 1-line block ×3, first 2 shown]
	v_accvgpr_read_b32 v32, a208
	s_barrier
	ds_write_b128 v32, v[136:139]
	ds_write_b128 v32, v[80:83] offset:400
	ds_write_b128 v32, v[72:75] offset:800
	;; [unrolled: 1-line block ×4, first 2 shown]
	v_accvgpr_read_b32 v16, a155
	ds_write_b128 v16, v[128:131]
	ds_write_b128 v16, v[76:79] offset:400
	ds_write_b128 v16, v[68:71] offset:800
	;; [unrolled: 1-line block ×4, first 2 shown]
	v_accvgpr_read_b32 v12, a154
	v_add_f64 v[2:3], v[2:3], v[98:99]
	ds_write_b128 v12, v[84:87]
	ds_write_b128 v12, v[56:59] offset:400
	ds_write_b128 v12, v[52:55] offset:800
	;; [unrolled: 1-line block ×4, first 2 shown]
	v_accvgpr_read_b32 v8, a121
	v_add_f64 v[2:3], v[2:3], v[102:103]
	ds_write_b128 v8, v[120:123]
	ds_write_b128 v8, v[40:43] offset:400
	ds_write_b128 v8, v[36:39] offset:800
	;; [unrolled: 1-line block ×4, first 2 shown]
	v_accvgpr_read_b32 v4, a120
	ds_write_b128 v4, v[0:3]
	ds_write_b128 v4, v[24:27] offset:400
	ds_write_b128 v4, v[20:23] offset:800
	;; [unrolled: 1-line block ×4, first 2 shown]
	s_waitcnt lgkmcnt(0)
	s_barrier
	ds_read_b128 v[16:19], v243
	ds_read_b128 v[96:99], v243 offset:10000
	ds_read_b128 v[92:95], v243 offset:20000
	;; [unrolled: 1-line block ×24, first 2 shown]
	s_waitcnt lgkmcnt(14)
	v_mul_f64 v[130:131], v[246:247], v[70:71]
	v_fmac_f64_e32 v[130:131], v[244:245], v[68:69]
	v_mul_f64 v[68:69], v[246:247], v[68:69]
	v_fma_f64 v[128:129], v[244:245], v[70:71], -v[68:69]
	v_accvgpr_read_b32 v71, a39
	v_accvgpr_read_b32 v70, a38
	v_accvgpr_read_b32 v69, a37
	v_accvgpr_read_b32 v68, a36
	s_waitcnt lgkmcnt(13)
	v_mul_f64 v[116:117], v[70:71], v[66:67]
	v_fmac_f64_e32 v[116:117], v[68:69], v[64:65]
	v_mul_f64 v[64:65], v[70:71], v[64:65]
	v_fma_f64 v[104:105], v[68:69], v[66:67], -v[64:65]
	v_accvgpr_read_b32 v67, a35
	v_accvgpr_read_b32 v66, a34
	v_accvgpr_read_b32 v65, a33
	v_accvgpr_read_b32 v64, a32
	;; [unrolled: 9-line block ×3, first 2 shown]
	s_waitcnt lgkmcnt(11)
	v_mul_f64 v[136:137], v[62:63], v[58:59]
	v_fmac_f64_e32 v[136:137], v[60:61], v[56:57]
	v_mul_f64 v[56:57], v[62:63], v[56:57]
	v_mul_f64 v[124:125], v[142:143], v[98:99]
	;; [unrolled: 1-line block ×3, first 2 shown]
	v_fma_f64 v[122:123], v[60:61], v[58:59], -v[56:57]
	v_accvgpr_read_b32 v59, a27
	v_fmac_f64_e32 v[124:125], v[140:141], v[96:97]
	v_mul_f64 v[96:97], v[142:143], v[96:97]
	v_fmac_f64_e32 v[110:111], v[140:141], v[80:81]
	v_mul_f64 v[80:81], v[142:143], v[80:81]
	v_accvgpr_read_b32 v58, a26
	v_fma_f64 v[106:107], v[140:141], v[98:99], -v[96:97]
	v_fma_f64 v[102:103], v[140:141], v[82:83], -v[80:81]
	v_accvgpr_read_b32 v57, a25
	v_accvgpr_read_b32 v56, a24
	s_waitcnt lgkmcnt(10)
	v_mul_f64 v[140:141], v[58:59], v[54:55]
	v_fmac_f64_e32 v[140:141], v[56:57], v[52:53]
	v_mul_f64 v[52:53], v[58:59], v[52:53]
	v_mul_f64 v[160:161], v[180:181], v[94:95]
	;; [unrolled: 1-line block ×3, first 2 shown]
	v_fma_f64 v[134:135], v[56:57], v[54:55], -v[52:53]
	v_accvgpr_read_b32 v55, a23
	v_fmac_f64_e32 v[160:161], v[178:179], v[92:93]
	v_mul_f64 v[92:93], v[180:181], v[92:93]
	v_fmac_f64_e32 v[170:171], v[244:245], v[84:85]
	v_mul_f64 v[84:85], v[246:247], v[84:85]
	v_accvgpr_read_b32 v54, a22
	v_fma_f64 v[114:115], v[178:179], v[94:95], -v[92:93]
	v_mul_f64 v[168:169], v[184:185], v[90:91]
	v_fma_f64 v[126:127], v[244:245], v[86:87], -v[84:85]
	v_accvgpr_read_b32 v53, a21
	v_accvgpr_read_b32 v52, a20
	s_waitcnt lgkmcnt(8)
	v_mul_f64 v[92:93], v[54:55], v[50:51]
	s_waitcnt lgkmcnt(1)
	v_mul_f64 v[84:85], v[254:255], v[26:27]
	v_fmac_f64_e32 v[168:169], v[182:183], v[88:89]
	v_mul_f64 v[88:89], v[184:185], v[88:89]
	v_fmac_f64_e32 v[92:93], v[52:53], v[48:49]
	v_mul_f64 v[48:49], v[54:55], v[48:49]
	v_mul_f64 v[80:81], v[228:229], v[30:31]
	v_fmac_f64_e32 v[84:85], v[252:253], v[24:25]
	v_mul_f64 v[24:25], v[254:255], v[24:25]
	v_fma_f64 v[118:119], v[182:183], v[90:91], -v[88:89]
	v_fma_f64 v[88:89], v[52:53], v[50:51], -v[48:49]
	v_accvgpr_read_b32 v51, a19
	v_fmac_f64_e32 v[80:81], v[226:227], v[28:29]
	v_mul_f64 v[28:29], v[228:229], v[28:29]
	v_fma_f64 v[228:229], v[252:253], v[26:27], -v[24:25]
	v_accvgpr_read_b32 v27, a3
	v_accvgpr_read_b32 v50, a18
	;; [unrolled: 1-line block ×5, first 2 shown]
	v_mul_f64 v[96:97], v[50:51], v[46:47]
	v_accvgpr_read_b32 v25, a1
	v_accvgpr_read_b32 v24, a0
	s_waitcnt lgkmcnt(0)
	v_mul_f64 v[86:87], v[26:27], v[22:23]
	v_fmac_f64_e32 v[96:97], v[48:49], v[44:45]
	v_mul_f64 v[44:45], v[50:51], v[44:45]
	v_fmac_f64_e32 v[86:87], v[24:25], v[20:21]
	v_mul_f64 v[20:21], v[26:27], v[20:21]
	v_fma_f64 v[90:91], v[48:49], v[46:47], -v[44:45]
	v_accvgpr_read_b32 v47, a15
	v_fma_f64 v[82:83], v[24:25], v[22:23], -v[20:21]
	v_add_f64 v[20:21], v[16:17], v[124:125]
	v_accvgpr_read_b32 v46, a14
	v_add_f64 v[20:21], v[20:21], v[160:161]
	v_accvgpr_read_b32 v45, a13
	v_accvgpr_read_b32 v44, a12
	v_mul_f64 v[100:101], v[46:47], v[42:43]
	v_add_f64 v[20:21], v[20:21], v[168:169]
	v_fmac_f64_e32 v[100:101], v[44:45], v[40:41]
	v_mul_f64 v[40:41], v[46:47], v[40:41]
	v_add_f64 v[68:69], v[20:21], v[170:171]
	v_add_f64 v[20:21], v[160:161], v[168:169]
	v_fma_f64 v[94:95], v[44:45], v[42:43], -v[40:41]
	v_fma_f64 v[44:45], -0.5, v[20:21], v[16:17]
	v_add_f64 v[20:21], v[106:107], -v[126:127]
	v_fma_f64 v[60:61], s[14:15], v[20:21], v[44:45]
	v_add_f64 v[22:23], v[114:115], -v[118:119]
	v_add_f64 v[24:25], v[124:125], -v[160:161]
	;; [unrolled: 1-line block ×3, first 2 shown]
	v_fmac_f64_e32 v[44:45], s[2:3], v[20:21]
	v_fmac_f64_e32 v[60:61], s[8:9], v[22:23]
	v_add_f64 v[24:25], v[24:25], v[26:27]
	v_fmac_f64_e32 v[44:45], s[6:7], v[22:23]
	v_fmac_f64_e32 v[60:61], s[4:5], v[24:25]
	;; [unrolled: 1-line block ×3, first 2 shown]
	v_add_f64 v[24:25], v[124:125], v[170:171]
	v_fmac_f64_e32 v[16:17], -0.5, v[24:25]
	v_fma_f64 v[52:53], s[2:3], v[22:23], v[16:17]
	v_fmac_f64_e32 v[16:17], s[14:15], v[22:23]
	v_fmac_f64_e32 v[52:53], s[8:9], v[20:21]
	;; [unrolled: 1-line block ×3, first 2 shown]
	v_add_f64 v[20:21], v[18:19], v[106:107]
	v_add_f64 v[20:21], v[20:21], v[114:115]
	;; [unrolled: 1-line block ×3, first 2 shown]
	v_add_f64 v[24:25], v[160:161], -v[124:125]
	v_add_f64 v[26:27], v[168:169], -v[170:171]
	v_add_f64 v[70:71], v[20:21], v[126:127]
	v_add_f64 v[20:21], v[114:115], v[118:119]
	;; [unrolled: 1-line block ×3, first 2 shown]
	v_fma_f64 v[46:47], -0.5, v[20:21], v[18:19]
	v_add_f64 v[20:21], v[124:125], -v[170:171]
	v_fmac_f64_e32 v[52:53], s[4:5], v[24:25]
	v_fmac_f64_e32 v[16:17], s[4:5], v[24:25]
	v_fma_f64 v[62:63], s[2:3], v[20:21], v[46:47]
	v_add_f64 v[22:23], v[160:161], -v[168:169]
	v_add_f64 v[24:25], v[106:107], -v[114:115]
	v_add_f64 v[26:27], v[126:127], -v[118:119]
	v_fmac_f64_e32 v[46:47], s[14:15], v[20:21]
	v_fmac_f64_e32 v[62:63], s[6:7], v[22:23]
	v_add_f64 v[24:25], v[24:25], v[26:27]
	v_fmac_f64_e32 v[46:47], s[8:9], v[22:23]
	v_fmac_f64_e32 v[62:63], s[4:5], v[24:25]
	;; [unrolled: 1-line block ×3, first 2 shown]
	v_add_f64 v[24:25], v[106:107], v[126:127]
	v_mul_f64 v[162:163], v[180:181], v[78:79]
	v_fmac_f64_e32 v[18:19], -0.5, v[24:25]
	v_fmac_f64_e32 v[162:163], v[178:179], v[76:77]
	v_mul_f64 v[76:77], v[180:181], v[76:77]
	v_fma_f64 v[54:55], s[14:15], v[22:23], v[18:19]
	v_fmac_f64_e32 v[18:19], s[2:3], v[22:23]
	v_fma_f64 v[120:121], v[178:179], v[78:79], -v[76:77]
	v_mul_f64 v[78:79], v[184:185], v[74:75]
	v_accvgpr_read_b32 v43, a11
	v_fmac_f64_e32 v[54:55], s[6:7], v[20:21]
	v_fmac_f64_e32 v[18:19], s[8:9], v[20:21]
	v_add_f64 v[20:21], v[12:13], v[110:111]
	v_fmac_f64_e32 v[78:79], v[182:183], v[72:73]
	v_accvgpr_read_b32 v42, a10
	v_add_f64 v[20:21], v[20:21], v[162:163]
	v_accvgpr_read_b32 v41, a9
	v_accvgpr_read_b32 v40, a8
	v_mul_f64 v[108:109], v[42:43], v[38:39]
	v_add_f64 v[20:21], v[20:21], v[78:79]
	v_mul_f64 v[72:73], v[184:185], v[72:73]
	v_fmac_f64_e32 v[108:109], v[40:41], v[36:37]
	v_mul_f64 v[36:37], v[42:43], v[36:37]
	v_add_f64 v[24:25], v[114:115], -v[106:107]
	v_add_f64 v[26:27], v[118:119], -v[126:127]
	v_add_f64 v[64:65], v[20:21], v[130:131]
	v_add_f64 v[20:21], v[162:163], v[78:79]
	v_fma_f64 v[138:139], v[182:183], v[74:75], -v[72:73]
	v_fma_f64 v[98:99], v[40:41], v[38:39], -v[36:37]
	v_add_f64 v[24:25], v[24:25], v[26:27]
	v_fma_f64 v[40:41], -0.5, v[20:21], v[12:13]
	v_add_f64 v[20:21], v[102:103], -v[128:129]
	v_fmac_f64_e32 v[54:55], s[4:5], v[24:25]
	v_fmac_f64_e32 v[18:19], s[4:5], v[24:25]
	v_fma_f64 v[56:57], s[14:15], v[20:21], v[40:41]
	v_add_f64 v[22:23], v[120:121], -v[138:139]
	v_add_f64 v[24:25], v[110:111], -v[162:163]
	;; [unrolled: 1-line block ×3, first 2 shown]
	v_fmac_f64_e32 v[40:41], s[2:3], v[20:21]
	v_fmac_f64_e32 v[56:57], s[8:9], v[22:23]
	v_add_f64 v[24:25], v[24:25], v[26:27]
	v_fmac_f64_e32 v[40:41], s[6:7], v[22:23]
	v_fmac_f64_e32 v[56:57], s[4:5], v[24:25]
	;; [unrolled: 1-line block ×3, first 2 shown]
	v_add_f64 v[24:25], v[110:111], v[130:131]
	v_fmac_f64_e32 v[12:13], -0.5, v[24:25]
	v_fma_f64 v[48:49], s[2:3], v[22:23], v[12:13]
	v_fmac_f64_e32 v[12:13], s[14:15], v[22:23]
	v_fmac_f64_e32 v[48:49], s[8:9], v[20:21]
	;; [unrolled: 1-line block ×3, first 2 shown]
	v_add_f64 v[20:21], v[14:15], v[102:103]
	v_add_f64 v[20:21], v[20:21], v[120:121]
	v_add_f64 v[20:21], v[20:21], v[138:139]
	v_add_f64 v[24:25], v[162:163], -v[110:111]
	v_add_f64 v[26:27], v[78:79], -v[130:131]
	v_add_f64 v[66:67], v[20:21], v[128:129]
	v_add_f64 v[20:21], v[120:121], v[138:139]
	;; [unrolled: 1-line block ×3, first 2 shown]
	v_fma_f64 v[42:43], -0.5, v[20:21], v[14:15]
	v_add_f64 v[20:21], v[110:111], -v[130:131]
	v_fmac_f64_e32 v[48:49], s[4:5], v[24:25]
	v_fmac_f64_e32 v[12:13], s[4:5], v[24:25]
	v_fma_f64 v[58:59], s[2:3], v[20:21], v[42:43]
	v_add_f64 v[22:23], v[162:163], -v[78:79]
	v_add_f64 v[24:25], v[102:103], -v[120:121]
	;; [unrolled: 1-line block ×3, first 2 shown]
	v_fmac_f64_e32 v[42:43], s[14:15], v[20:21]
	v_fmac_f64_e32 v[58:59], s[6:7], v[22:23]
	v_add_f64 v[24:25], v[24:25], v[26:27]
	v_fmac_f64_e32 v[42:43], s[8:9], v[22:23]
	v_fmac_f64_e32 v[58:59], s[4:5], v[24:25]
	;; [unrolled: 1-line block ×3, first 2 shown]
	v_add_f64 v[24:25], v[102:103], v[128:129]
	v_fmac_f64_e32 v[14:15], -0.5, v[24:25]
	v_accvgpr_read_b32 v39, a7
	v_fma_f64 v[50:51], s[14:15], v[22:23], v[14:15]
	v_fmac_f64_e32 v[14:15], s[2:3], v[22:23]
	v_accvgpr_read_b32 v38, a6
	v_fmac_f64_e32 v[50:51], s[6:7], v[20:21]
	v_fmac_f64_e32 v[14:15], s[8:9], v[20:21]
	v_add_f64 v[20:21], v[8:9], v[116:117]
	v_accvgpr_read_b32 v37, a5
	v_accvgpr_read_b32 v36, a4
	v_mul_f64 v[76:77], v[38:39], v[34:35]
	v_add_f64 v[20:21], v[20:21], v[132:133]
	v_fmac_f64_e32 v[76:77], v[36:37], v[32:33]
	v_mul_f64 v[32:33], v[38:39], v[32:33]
	v_add_f64 v[20:21], v[20:21], v[136:137]
	v_fma_f64 v[72:73], v[36:37], v[34:35], -v[32:33]
	v_add_f64 v[24:25], v[120:121], -v[102:103]
	v_add_f64 v[26:27], v[138:139], -v[128:129]
	v_add_f64 v[32:33], v[20:21], v[140:141]
	v_add_f64 v[20:21], v[132:133], v[136:137]
	;; [unrolled: 1-line block ×3, first 2 shown]
	v_fma_f64 v[20:21], -0.5, v[20:21], v[8:9]
	v_add_f64 v[22:23], v[104:105], -v[134:135]
	v_fma_f64 v[74:75], v[226:227], v[30:31], -v[28:29]
	v_fmac_f64_e32 v[50:51], s[4:5], v[24:25]
	v_fmac_f64_e32 v[14:15], s[4:5], v[24:25]
	v_fma_f64 v[36:37], s[14:15], v[22:23], v[20:21]
	v_add_f64 v[26:27], v[112:113], -v[122:123]
	v_add_f64 v[24:25], v[116:117], -v[132:133]
	;; [unrolled: 1-line block ×3, first 2 shown]
	v_fmac_f64_e32 v[20:21], s[2:3], v[22:23]
	v_fmac_f64_e32 v[36:37], s[8:9], v[26:27]
	v_add_f64 v[24:25], v[24:25], v[28:29]
	v_fmac_f64_e32 v[20:21], s[6:7], v[26:27]
	v_fmac_f64_e32 v[36:37], s[4:5], v[24:25]
	;; [unrolled: 1-line block ×3, first 2 shown]
	v_add_f64 v[24:25], v[116:117], v[140:141]
	v_fmac_f64_e32 v[8:9], -0.5, v[24:25]
	v_fma_f64 v[24:25], s[2:3], v[26:27], v[8:9]
	v_fmac_f64_e32 v[8:9], s[14:15], v[26:27]
	v_fmac_f64_e32 v[24:25], s[8:9], v[22:23]
	v_fmac_f64_e32 v[8:9], s[6:7], v[22:23]
	v_add_f64 v[22:23], v[10:11], v[104:105]
	v_add_f64 v[22:23], v[22:23], v[112:113]
	v_add_f64 v[28:29], v[132:133], -v[116:117]
	v_add_f64 v[30:31], v[136:137], -v[140:141]
	v_add_f64 v[22:23], v[22:23], v[122:123]
	v_add_f64 v[28:29], v[28:29], v[30:31]
	;; [unrolled: 1-line block ×4, first 2 shown]
	v_fmac_f64_e32 v[24:25], s[4:5], v[28:29]
	v_fmac_f64_e32 v[8:9], s[4:5], v[28:29]
	v_fma_f64 v[22:23], -0.5, v[22:23], v[10:11]
	v_add_f64 v[28:29], v[116:117], -v[140:141]
	v_fma_f64 v[38:39], s[2:3], v[28:29], v[22:23]
	v_add_f64 v[30:31], v[132:133], -v[136:137]
	v_add_f64 v[26:27], v[104:105], -v[112:113]
	;; [unrolled: 1-line block ×3, first 2 shown]
	v_fmac_f64_e32 v[22:23], s[14:15], v[28:29]
	v_fmac_f64_e32 v[38:39], s[6:7], v[30:31]
	v_add_f64 v[26:27], v[26:27], v[78:79]
	v_fmac_f64_e32 v[22:23], s[8:9], v[30:31]
	v_fmac_f64_e32 v[38:39], s[4:5], v[26:27]
	;; [unrolled: 1-line block ×3, first 2 shown]
	v_add_f64 v[26:27], v[104:105], v[134:135]
	v_fmac_f64_e32 v[10:11], -0.5, v[26:27]
	v_fma_f64 v[26:27], s[14:15], v[30:31], v[10:11]
	v_fmac_f64_e32 v[10:11], s[2:3], v[30:31]
	v_fmac_f64_e32 v[26:27], s[6:7], v[28:29]
	;; [unrolled: 1-line block ×3, first 2 shown]
	v_add_f64 v[28:29], v[4:5], v[92:93]
	v_add_f64 v[28:29], v[28:29], v[96:97]
	;; [unrolled: 1-line block ×3, first 2 shown]
	v_add_f64 v[78:79], v[112:113], -v[104:105]
	v_add_f64 v[102:103], v[122:123], -v[134:135]
	v_add_f64 v[116:117], v[28:29], v[108:109]
	v_add_f64 v[28:29], v[96:97], v[100:101]
	;; [unrolled: 1-line block ×3, first 2 shown]
	v_fma_f64 v[28:29], -0.5, v[28:29], v[4:5]
	v_add_f64 v[30:31], v[88:89], -v[98:99]
	v_fmac_f64_e32 v[26:27], s[4:5], v[78:79]
	v_fmac_f64_e32 v[10:11], s[4:5], v[78:79]
	v_fma_f64 v[112:113], s[14:15], v[30:31], v[28:29]
	v_add_f64 v[78:79], v[90:91], -v[94:95]
	v_add_f64 v[102:103], v[92:93], -v[96:97]
	;; [unrolled: 1-line block ×3, first 2 shown]
	v_fmac_f64_e32 v[28:29], s[2:3], v[30:31]
	v_fmac_f64_e32 v[112:113], s[8:9], v[78:79]
	v_add_f64 v[102:103], v[102:103], v[104:105]
	v_fmac_f64_e32 v[28:29], s[6:7], v[78:79]
	v_fmac_f64_e32 v[112:113], s[4:5], v[102:103]
	;; [unrolled: 1-line block ×3, first 2 shown]
	v_add_f64 v[102:103], v[92:93], v[108:109]
	v_fmac_f64_e32 v[4:5], -0.5, v[102:103]
	v_fma_f64 v[120:121], s[2:3], v[78:79], v[4:5]
	v_fmac_f64_e32 v[4:5], s[14:15], v[78:79]
	v_fmac_f64_e32 v[120:121], s[8:9], v[30:31]
	;; [unrolled: 1-line block ×3, first 2 shown]
	v_add_f64 v[30:31], v[6:7], v[88:89]
	v_add_f64 v[30:31], v[30:31], v[90:91]
	;; [unrolled: 1-line block ×5, first 2 shown]
	v_fma_f64 v[30:31], -0.5, v[30:31], v[6:7]
	v_add_f64 v[78:79], v[92:93], -v[108:109]
	v_add_f64 v[102:103], v[96:97], -v[92:93]
	;; [unrolled: 1-line block ×3, first 2 shown]
	v_fma_f64 v[114:115], s[2:3], v[78:79], v[30:31]
	v_add_f64 v[92:93], v[96:97], -v[100:101]
	v_add_f64 v[96:97], v[88:89], -v[90:91]
	;; [unrolled: 1-line block ×3, first 2 shown]
	v_fmac_f64_e32 v[30:31], s[14:15], v[78:79]
	v_fmac_f64_e32 v[114:115], s[6:7], v[92:93]
	v_add_f64 v[96:97], v[96:97], v[100:101]
	v_fmac_f64_e32 v[30:31], s[8:9], v[92:93]
	v_fmac_f64_e32 v[114:115], s[4:5], v[96:97]
	;; [unrolled: 1-line block ×3, first 2 shown]
	v_add_f64 v[96:97], v[88:89], v[98:99]
	v_fmac_f64_e32 v[6:7], -0.5, v[96:97]
	v_fma_f64 v[122:123], s[14:15], v[92:93], v[6:7]
	v_fmac_f64_e32 v[6:7], s[2:3], v[92:93]
	v_fmac_f64_e32 v[122:123], s[6:7], v[78:79]
	;; [unrolled: 1-line block ×3, first 2 shown]
	v_add_f64 v[78:79], v[0:1], v[76:77]
	v_add_f64 v[78:79], v[78:79], v[80:81]
	;; [unrolled: 1-line block ×3, first 2 shown]
	v_add_f64 v[88:89], v[90:91], -v[88:89]
	v_add_f64 v[90:91], v[94:95], -v[98:99]
	v_add_f64 v[136:137], v[78:79], v[86:87]
	v_add_f64 v[78:79], v[80:81], v[84:85]
	;; [unrolled: 1-line block ×3, first 2 shown]
	v_fma_f64 v[124:125], -0.5, v[78:79], v[0:1]
	v_add_f64 v[78:79], v[72:73], -v[82:83]
	v_fmac_f64_e32 v[122:123], s[4:5], v[88:89]
	v_fmac_f64_e32 v[6:7], s[4:5], v[88:89]
	v_fma_f64 v[132:133], s[14:15], v[78:79], v[124:125]
	v_add_f64 v[88:89], v[74:75], -v[228:229]
	v_add_f64 v[90:91], v[76:77], -v[80:81]
	;; [unrolled: 1-line block ×3, first 2 shown]
	v_fmac_f64_e32 v[124:125], s[2:3], v[78:79]
	v_fmac_f64_e32 v[132:133], s[8:9], v[88:89]
	v_add_f64 v[90:91], v[90:91], v[92:93]
	v_fmac_f64_e32 v[124:125], s[6:7], v[88:89]
	v_fmac_f64_e32 v[132:133], s[4:5], v[90:91]
	;; [unrolled: 1-line block ×3, first 2 shown]
	v_add_f64 v[90:91], v[76:77], v[86:87]
	v_fmac_f64_e32 v[0:1], -0.5, v[90:91]
	v_fma_f64 v[140:141], s[2:3], v[88:89], v[0:1]
	v_fmac_f64_e32 v[0:1], s[14:15], v[88:89]
	v_fmac_f64_e32 v[140:141], s[8:9], v[78:79]
	;; [unrolled: 1-line block ×3, first 2 shown]
	v_add_f64 v[78:79], v[2:3], v[72:73]
	v_add_f64 v[78:79], v[78:79], v[74:75]
	;; [unrolled: 1-line block ×5, first 2 shown]
	v_add_f64 v[90:91], v[80:81], -v[76:77]
	v_fma_f64 v[126:127], -0.5, v[78:79], v[2:3]
	v_add_f64 v[76:77], v[76:77], -v[86:87]
	v_add_f64 v[92:93], v[84:85], -v[86:87]
	v_fma_f64 v[134:135], s[2:3], v[76:77], v[126:127]
	v_add_f64 v[78:79], v[80:81], -v[84:85]
	v_add_f64 v[80:81], v[72:73], -v[74:75]
	;; [unrolled: 1-line block ×3, first 2 shown]
	v_fmac_f64_e32 v[126:127], s[14:15], v[76:77]
	v_fmac_f64_e32 v[134:135], s[6:7], v[78:79]
	v_add_f64 v[80:81], v[80:81], v[84:85]
	v_fmac_f64_e32 v[126:127], s[8:9], v[78:79]
	v_fmac_f64_e32 v[134:135], s[4:5], v[80:81]
	;; [unrolled: 1-line block ×3, first 2 shown]
	v_add_f64 v[80:81], v[72:73], v[82:83]
	v_fmac_f64_e32 v[2:3], -0.5, v[80:81]
	v_add_f64 v[102:103], v[102:103], v[104:105]
	v_fma_f64 v[142:143], s[14:15], v[78:79], v[2:3]
	v_add_f64 v[72:73], v[74:75], -v[72:73]
	v_add_f64 v[74:75], v[228:229], -v[82:83]
	v_fmac_f64_e32 v[2:3], s[2:3], v[78:79]
	s_barrier
	ds_write_b128 v243, v[68:71]
	ds_write_b128 v243, v[60:63] offset:2000
	ds_write_b128 v243, v[52:55] offset:4000
	;; [unrolled: 1-line block ×9, first 2 shown]
	v_accvgpr_read_b32 v12, a103
	v_fmac_f64_e32 v[4:5], s[4:5], v[102:103]
	v_add_f64 v[90:91], v[90:91], v[92:93]
	v_add_f64 v[72:73], v[72:73], v[74:75]
	v_fmac_f64_e32 v[2:3], s[8:9], v[76:77]
	ds_write_b128 v12, v[32:35] offset:20000
	ds_write_b128 v12, v[36:39] offset:22000
	;; [unrolled: 1-line block ×5, first 2 shown]
	v_accvgpr_read_b32 v8, a209
	v_fmac_f64_e32 v[120:121], s[4:5], v[102:103]
	v_fmac_f64_e32 v[0:1], s[4:5], v[90:91]
	;; [unrolled: 1-line block ×4, first 2 shown]
	ds_write_b128 v8, v[116:119] offset:30000
	ds_write_b128 v8, v[112:115] offset:32000
	;; [unrolled: 1-line block ×5, first 2 shown]
	v_accvgpr_read_b32 v4, a102
	v_fmac_f64_e32 v[140:141], s[4:5], v[90:91]
	v_fmac_f64_e32 v[142:143], s[4:5], v[72:73]
	ds_write_b128 v4, v[136:139] offset:40000
	ds_write_b128 v4, v[132:135] offset:42000
	;; [unrolled: 1-line block ×5, first 2 shown]
	s_waitcnt lgkmcnt(0)
	s_barrier
	ds_read_b128 v[0:3], v243
	ds_read_b128 v[40:43], v243 offset:10000
	ds_read_b128 v[28:31], v243 offset:20000
	ds_read_b128 v[24:27], v243 offset:30000
	ds_read_b128 v[20:23], v243 offset:40000
	ds_read_b128 v[8:11], v243 offset:2000
	ds_read_b128 v[44:47], v243 offset:12000
	ds_read_b128 v[48:51], v243 offset:22000
	ds_read_b128 v[56:59], v243 offset:32000
	ds_read_b128 v[60:63], v243 offset:42000
	ds_read_b128 v[12:15], v243 offset:4000
	ds_read_b128 v[64:67], v243 offset:14000
	ds_read_b128 v[70:73], v243 offset:24000
	ds_read_b128 v[78:81], v243 offset:34000
	ds_read_b128 v[82:85], v243 offset:44000
	ds_read_b128 v[16:19], v243 offset:6000
	ds_read_b128 v[86:89], v243 offset:16000
	ds_read_b128 v[90:93], v243 offset:26000
	ds_read_b128 v[100:103], v243 offset:36000
	ds_read_b128 v[112:115], v243 offset:46000
	ds_read_b128 v[4:7], v243 offset:8000
	ds_read_b128 v[116:119], v243 offset:18000
	ds_read_b128 v[120:123], v243 offset:28000
	ds_read_b128 v[36:39], v243 offset:38000
	ds_read_b128 v[32:35], v243 offset:48000
	s_waitcnt lgkmcnt(14)
	v_mul_f64 v[124:125], v[224:225], v[42:43]
	v_fmac_f64_e32 v[124:125], v[222:223], v[40:41]
	v_mul_f64 v[40:41], v[224:225], v[40:41]
	v_fma_f64 v[40:41], v[222:223], v[42:43], -v[40:41]
	v_mul_f64 v[42:43], v[232:233], v[30:31]
	v_fmac_f64_e32 v[42:43], v[230:231], v[28:29]
	v_mul_f64 v[28:29], v[232:233], v[28:29]
	v_fma_f64 v[126:127], v[230:231], v[30:31], -v[28:29]
	v_mul_f64 v[30:31], v[250:251], v[22:23]
	v_fmac_f64_e32 v[30:31], v[248:249], v[20:21]
	v_mul_f64 v[20:21], v[250:251], v[20:21]
	v_fma_f64 v[132:133], v[248:249], v[22:23], -v[20:21]
	v_mul_f64 v[20:21], v[208:209], v[44:45]
	v_fma_f64 v[52:53], v[206:207], v[46:47], -v[20:21]
	v_mul_f64 v[20:21], v[212:213], v[48:49]
	v_mul_f64 v[136:137], v[212:213], v[50:51]
	v_fma_f64 v[54:55], v[210:211], v[50:51], -v[20:21]
	v_mul_f64 v[50:51], v[216:217], v[58:59]
	v_mul_f64 v[20:21], v[216:217], v[56:57]
	v_fmac_f64_e32 v[50:51], v[214:215], v[56:57]
	v_fma_f64 v[56:57], v[214:215], v[58:59], -v[20:21]
	v_mul_f64 v[20:21], v[220:221], v[60:61]
	v_fma_f64 v[58:59], v[218:219], v[62:63], -v[20:21]
	s_waitcnt lgkmcnt(13)
	v_mul_f64 v[20:21], v[192:193], v[64:65]
	v_mul_f64 v[134:135], v[208:209], v[46:47]
	;; [unrolled: 1-line block ×4, first 2 shown]
	v_fma_f64 v[68:69], v[190:191], v[66:67], -v[20:21]
	s_waitcnt lgkmcnt(12)
	v_mul_f64 v[66:67], v[196:197], v[72:73]
	v_mul_f64 v[20:21], v[196:197], v[70:71]
	v_fmac_f64_e32 v[66:67], v[194:195], v[70:71]
	v_fma_f64 v[70:71], v[194:195], v[72:73], -v[20:21]
	s_waitcnt lgkmcnt(11)
	v_mul_f64 v[20:21], v[200:201], v[78:79]
	v_fma_f64 v[72:73], v[198:199], v[80:81], -v[20:21]
	s_waitcnt lgkmcnt(10)
	v_mul_f64 v[20:21], v[204:205], v[82:83]
	;; [unrolled: 3-line block ×5, first 2 shown]
	v_mul_f64 v[20:21], v[240:241], v[100:101]
	v_fmac_f64_e32 v[106:107], v[238:239], v[100:101]
	v_fma_f64 v[100:101], v[238:239], v[102:103], -v[20:21]
	s_waitcnt lgkmcnt(5)
	v_mul_f64 v[20:21], v[188:189], v[112:113]
	v_fma_f64 v[102:103], v[186:187], v[114:115], -v[20:21]
	s_waitcnt lgkmcnt(3)
	v_mul_f64 v[20:21], v[146:147], v[116:117]
	v_mul_f64 v[76:77], v[200:201], v[80:81]
	;; [unrolled: 1-line block ×3, first 2 shown]
	v_fma_f64 v[80:81], v[144:145], v[118:119], -v[20:21]
	s_waitcnt lgkmcnt(2)
	v_mul_f64 v[20:21], v[150:151], v[120:121]
	v_fmac_f64_e32 v[110:111], v[202:203], v[82:83]
	v_fma_f64 v[82:83], v[148:149], v[122:123], -v[20:21]
	s_waitcnt lgkmcnt(1)
	v_mul_f64 v[20:21], v[154:155], v[36:37]
	v_fmac_f64_e32 v[76:77], v[198:199], v[78:79]
	v_mul_f64 v[78:79], v[166:167], v[88:89]
	v_fma_f64 v[84:85], v[152:153], v[38:39], -v[20:21]
	s_waitcnt lgkmcnt(0)
	v_mul_f64 v[20:21], v[158:159], v[32:33]
	v_mul_f64 v[128:129], v[236:237], v[26:27]
	v_fmac_f64_e32 v[78:79], v[164:165], v[86:87]
	v_fma_f64 v[86:87], v[156:157], v[34:35], -v[20:21]
	v_add_f64 v[20:21], v[0:1], v[124:125]
	v_fmac_f64_e32 v[128:129], v[234:235], v[24:25]
	v_add_f64 v[20:21], v[20:21], v[42:43]
	v_mul_f64 v[24:25], v[236:237], v[24:25]
	v_add_f64 v[20:21], v[20:21], v[128:129]
	v_fma_f64 v[130:131], v[234:235], v[26:27], -v[24:25]
	v_add_f64 v[24:25], v[20:21], v[30:31]
	v_add_f64 v[20:21], v[42:43], v[128:129]
	v_mul_f64 v[94:95], v[158:159], v[34:35]
	v_fma_f64 v[20:21], -0.5, v[20:21], v[0:1]
	v_add_f64 v[22:23], v[40:41], -v[132:133]
	v_fmac_f64_e32 v[94:95], v[156:157], v[32:33]
	v_fma_f64 v[28:29], s[14:15], v[22:23], v[20:21]
	v_add_f64 v[26:27], v[126:127], -v[130:131]
	v_add_f64 v[32:33], v[124:125], -v[42:43]
	;; [unrolled: 1-line block ×3, first 2 shown]
	v_fmac_f64_e32 v[20:21], s[2:3], v[22:23]
	v_fmac_f64_e32 v[28:29], s[8:9], v[26:27]
	v_add_f64 v[32:33], v[32:33], v[34:35]
	v_fmac_f64_e32 v[20:21], s[6:7], v[26:27]
	v_fmac_f64_e32 v[28:29], s[4:5], v[32:33]
	;; [unrolled: 1-line block ×3, first 2 shown]
	v_add_f64 v[32:33], v[124:125], v[30:31]
	v_fmac_f64_e32 v[0:1], -0.5, v[32:33]
	v_fma_f64 v[32:33], s[2:3], v[26:27], v[0:1]
	v_fmac_f64_e32 v[0:1], s[14:15], v[26:27]
	v_fmac_f64_e32 v[32:33], s[8:9], v[22:23]
	;; [unrolled: 1-line block ×3, first 2 shown]
	v_add_f64 v[22:23], v[2:3], v[40:41]
	v_add_f64 v[22:23], v[22:23], v[126:127]
	v_mul_f64 v[104:105], v[174:175], v[92:93]
	v_mul_f64 v[92:93], v[154:155], v[38:39]
	v_add_f64 v[22:23], v[22:23], v[130:131]
	v_fmac_f64_e32 v[92:93], v[152:153], v[36:37]
	v_add_f64 v[34:35], v[42:43], -v[124:125]
	v_add_f64 v[36:37], v[128:129], -v[30:31]
	v_add_f64 v[26:27], v[22:23], v[132:133]
	v_add_f64 v[22:23], v[126:127], v[130:131]
	;; [unrolled: 1-line block ×3, first 2 shown]
	v_fma_f64 v[22:23], -0.5, v[22:23], v[2:3]
	v_add_f64 v[36:37], v[124:125], -v[30:31]
	v_fmac_f64_e32 v[32:33], s[4:5], v[34:35]
	v_fmac_f64_e32 v[0:1], s[4:5], v[34:35]
	v_fma_f64 v[30:31], s[2:3], v[36:37], v[22:23]
	v_add_f64 v[38:39], v[42:43], -v[128:129]
	v_add_f64 v[34:35], v[40:41], -v[126:127]
	;; [unrolled: 1-line block ×3, first 2 shown]
	v_fmac_f64_e32 v[22:23], s[14:15], v[36:37]
	v_fmac_f64_e32 v[30:31], s[6:7], v[38:39]
	v_add_f64 v[34:35], v[34:35], v[42:43]
	v_fmac_f64_e32 v[22:23], s[8:9], v[38:39]
	v_fmac_f64_e32 v[30:31], s[4:5], v[34:35]
	;; [unrolled: 1-line block ×3, first 2 shown]
	v_add_f64 v[34:35], v[40:41], v[132:133]
	v_fmac_f64_e32 v[2:3], -0.5, v[34:35]
	v_fmac_f64_e32 v[134:135], v[206:207], v[44:45]
	v_fma_f64 v[34:35], s[14:15], v[38:39], v[2:3]
	v_fmac_f64_e32 v[2:3], s[2:3], v[38:39]
	v_fmac_f64_e32 v[136:137], v[210:211], v[48:49]
	;; [unrolled: 1-line block ×4, first 2 shown]
	v_add_f64 v[36:37], v[8:9], v[134:135]
	v_add_f64 v[40:41], v[126:127], -v[40:41]
	v_add_f64 v[42:43], v[130:131], -v[132:133]
	v_add_f64 v[36:37], v[36:37], v[136:137]
	v_fmac_f64_e32 v[46:47], v[218:219], v[60:61]
	v_add_f64 v[40:41], v[40:41], v[42:43]
	v_add_f64 v[36:37], v[36:37], v[50:51]
	v_fmac_f64_e32 v[34:35], s[4:5], v[40:41]
	v_fmac_f64_e32 v[2:3], s[4:5], v[40:41]
	v_add_f64 v[40:41], v[36:37], v[46:47]
	v_add_f64 v[36:37], v[136:137], v[50:51]
	v_fma_f64 v[36:37], -0.5, v[36:37], v[8:9]
	v_add_f64 v[38:39], v[52:53], -v[58:59]
	v_fma_f64 v[44:45], s[14:15], v[38:39], v[36:37]
	v_add_f64 v[42:43], v[54:55], -v[56:57]
	v_add_f64 v[48:49], v[134:135], -v[136:137]
	;; [unrolled: 1-line block ×3, first 2 shown]
	v_fmac_f64_e32 v[36:37], s[2:3], v[38:39]
	v_fmac_f64_e32 v[44:45], s[8:9], v[42:43]
	v_add_f64 v[48:49], v[48:49], v[60:61]
	v_fmac_f64_e32 v[36:37], s[6:7], v[42:43]
	v_fmac_f64_e32 v[44:45], s[4:5], v[48:49]
	v_fmac_f64_e32 v[36:37], s[4:5], v[48:49]
	v_add_f64 v[48:49], v[134:135], v[46:47]
	v_fmac_f64_e32 v[8:9], -0.5, v[48:49]
	v_fma_f64 v[48:49], s[2:3], v[42:43], v[8:9]
	v_fmac_f64_e32 v[8:9], s[14:15], v[42:43]
	v_fmac_f64_e32 v[48:49], s[8:9], v[38:39]
	;; [unrolled: 1-line block ×3, first 2 shown]
	v_add_f64 v[38:39], v[10:11], v[52:53]
	v_add_f64 v[38:39], v[38:39], v[54:55]
	v_fmac_f64_e32 v[62:63], v[190:191], v[64:65]
	v_add_f64 v[60:61], v[136:137], -v[134:135]
	v_add_f64 v[64:65], v[50:51], -v[46:47]
	v_add_f64 v[38:39], v[38:39], v[56:57]
	v_add_f64 v[60:61], v[60:61], v[64:65]
	;; [unrolled: 1-line block ×4, first 2 shown]
	v_mul_f64 v[108:109], v[188:189], v[114:115]
	v_fmac_f64_e32 v[48:49], s[4:5], v[60:61]
	v_fmac_f64_e32 v[8:9], s[4:5], v[60:61]
	v_fma_f64 v[38:39], -0.5, v[38:39], v[10:11]
	v_add_f64 v[60:61], v[134:135], -v[46:47]
	v_fmac_f64_e32 v[108:109], v[186:187], v[112:113]
	v_fma_f64 v[46:47], s[2:3], v[60:61], v[38:39]
	v_add_f64 v[64:65], v[136:137], -v[50:51]
	v_add_f64 v[50:51], v[52:53], -v[54:55]
	v_add_f64 v[112:113], v[58:59], -v[56:57]
	v_fmac_f64_e32 v[38:39], s[14:15], v[60:61]
	v_fmac_f64_e32 v[46:47], s[6:7], v[64:65]
	v_add_f64 v[50:51], v[50:51], v[112:113]
	v_fmac_f64_e32 v[38:39], s[8:9], v[64:65]
	v_fmac_f64_e32 v[46:47], s[4:5], v[50:51]
	;; [unrolled: 1-line block ×3, first 2 shown]
	v_add_f64 v[50:51], v[52:53], v[58:59]
	v_fmac_f64_e32 v[10:11], -0.5, v[50:51]
	v_fma_f64 v[50:51], s[14:15], v[64:65], v[10:11]
	v_add_f64 v[52:53], v[54:55], -v[52:53]
	v_add_f64 v[54:55], v[56:57], -v[58:59]
	v_fmac_f64_e32 v[10:11], s[2:3], v[64:65]
	v_fmac_f64_e32 v[50:51], s[6:7], v[60:61]
	v_add_f64 v[52:53], v[52:53], v[54:55]
	v_fmac_f64_e32 v[10:11], s[8:9], v[60:61]
	v_fmac_f64_e32 v[50:51], s[4:5], v[52:53]
	;; [unrolled: 1-line block ×3, first 2 shown]
	v_add_f64 v[52:53], v[12:13], v[62:63]
	v_add_f64 v[52:53], v[52:53], v[66:67]
	;; [unrolled: 1-line block ×5, first 2 shown]
	v_fma_f64 v[52:53], -0.5, v[52:53], v[12:13]
	v_add_f64 v[54:55], v[68:69], -v[74:75]
	v_fma_f64 v[60:61], s[14:15], v[54:55], v[52:53]
	v_add_f64 v[58:59], v[70:71], -v[72:73]
	v_add_f64 v[64:65], v[62:63], -v[66:67]
	;; [unrolled: 1-line block ×3, first 2 shown]
	v_fmac_f64_e32 v[52:53], s[2:3], v[54:55]
	v_fmac_f64_e32 v[60:61], s[8:9], v[58:59]
	v_add_f64 v[64:65], v[64:65], v[112:113]
	v_fmac_f64_e32 v[52:53], s[6:7], v[58:59]
	v_fmac_f64_e32 v[60:61], s[4:5], v[64:65]
	;; [unrolled: 1-line block ×3, first 2 shown]
	v_add_f64 v[64:65], v[62:63], v[110:111]
	v_fmac_f64_e32 v[12:13], -0.5, v[64:65]
	v_fma_f64 v[64:65], s[2:3], v[58:59], v[12:13]
	v_fmac_f64_e32 v[12:13], s[14:15], v[58:59]
	v_fmac_f64_e32 v[64:65], s[8:9], v[54:55]
	;; [unrolled: 1-line block ×3, first 2 shown]
	v_add_f64 v[54:55], v[14:15], v[68:69]
	v_add_f64 v[54:55], v[54:55], v[70:71]
	;; [unrolled: 1-line block ×3, first 2 shown]
	v_add_f64 v[112:113], v[66:67], -v[62:63]
	v_add_f64 v[114:115], v[76:77], -v[110:111]
	v_add_f64 v[58:59], v[54:55], v[74:75]
	v_add_f64 v[54:55], v[70:71], v[72:73]
	;; [unrolled: 1-line block ×3, first 2 shown]
	v_fma_f64 v[54:55], -0.5, v[54:55], v[14:15]
	v_add_f64 v[110:111], v[62:63], -v[110:111]
	v_fmac_f64_e32 v[64:65], s[4:5], v[112:113]
	v_fmac_f64_e32 v[12:13], s[4:5], v[112:113]
	v_fma_f64 v[62:63], s[2:3], v[110:111], v[54:55]
	v_add_f64 v[76:77], v[66:67], -v[76:77]
	v_add_f64 v[66:67], v[68:69], -v[70:71]
	;; [unrolled: 1-line block ×3, first 2 shown]
	v_fmac_f64_e32 v[54:55], s[14:15], v[110:111]
	v_fmac_f64_e32 v[62:63], s[6:7], v[76:77]
	v_add_f64 v[66:67], v[66:67], v[112:113]
	v_fmac_f64_e32 v[54:55], s[8:9], v[76:77]
	v_fmac_f64_e32 v[62:63], s[4:5], v[66:67]
	;; [unrolled: 1-line block ×3, first 2 shown]
	v_add_f64 v[66:67], v[68:69], v[74:75]
	v_fmac_f64_e32 v[14:15], -0.5, v[66:67]
	v_fma_f64 v[66:67], s[14:15], v[76:77], v[14:15]
	v_add_f64 v[68:69], v[70:71], -v[68:69]
	v_add_f64 v[70:71], v[72:73], -v[74:75]
	v_fmac_f64_e32 v[14:15], s[2:3], v[76:77]
	v_fmac_f64_e32 v[66:67], s[6:7], v[110:111]
	v_add_f64 v[68:69], v[68:69], v[70:71]
	v_fmac_f64_e32 v[14:15], s[8:9], v[110:111]
	v_fmac_f64_e32 v[104:105], v[172:173], v[90:91]
	;; [unrolled: 1-line block ×4, first 2 shown]
	v_add_f64 v[68:69], v[16:17], v[78:79]
	v_add_f64 v[68:69], v[68:69], v[104:105]
	;; [unrolled: 1-line block ×5, first 2 shown]
	v_fma_f64 v[68:69], -0.5, v[68:69], v[16:17]
	v_add_f64 v[70:71], v[96:97], -v[102:103]
	v_fma_f64 v[76:77], s[14:15], v[70:71], v[68:69]
	v_add_f64 v[74:75], v[98:99], -v[100:101]
	v_add_f64 v[110:111], v[78:79], -v[104:105]
	;; [unrolled: 1-line block ×3, first 2 shown]
	v_fmac_f64_e32 v[68:69], s[2:3], v[70:71]
	v_fmac_f64_e32 v[76:77], s[8:9], v[74:75]
	v_add_f64 v[110:111], v[110:111], v[112:113]
	v_fmac_f64_e32 v[68:69], s[6:7], v[74:75]
	v_fmac_f64_e32 v[76:77], s[4:5], v[110:111]
	;; [unrolled: 1-line block ×3, first 2 shown]
	v_add_f64 v[110:111], v[78:79], v[108:109]
	v_fmac_f64_e32 v[16:17], -0.5, v[110:111]
	v_fma_f64 v[110:111], s[2:3], v[74:75], v[16:17]
	v_fmac_f64_e32 v[16:17], s[14:15], v[74:75]
	v_fmac_f64_e32 v[110:111], s[8:9], v[70:71]
	;; [unrolled: 1-line block ×3, first 2 shown]
	v_add_f64 v[70:71], v[18:19], v[96:97]
	v_add_f64 v[70:71], v[70:71], v[98:99]
	;; [unrolled: 1-line block ×3, first 2 shown]
	v_add_f64 v[112:113], v[104:105], -v[78:79]
	v_add_f64 v[114:115], v[106:107], -v[108:109]
	v_add_f64 v[74:75], v[70:71], v[102:103]
	v_add_f64 v[70:71], v[98:99], v[100:101]
	;; [unrolled: 1-line block ×3, first 2 shown]
	v_fma_f64 v[70:71], -0.5, v[70:71], v[18:19]
	v_add_f64 v[108:109], v[78:79], -v[108:109]
	v_fmac_f64_e32 v[110:111], s[4:5], v[112:113]
	v_fmac_f64_e32 v[16:17], s[4:5], v[112:113]
	v_fma_f64 v[78:79], s[2:3], v[108:109], v[70:71]
	v_add_f64 v[104:105], v[104:105], -v[106:107]
	v_add_f64 v[106:107], v[96:97], -v[98:99]
	v_add_f64 v[112:113], v[102:103], -v[100:101]
	v_fmac_f64_e32 v[70:71], s[14:15], v[108:109]
	v_mul_f64 v[90:91], v[150:151], v[122:123]
	v_fmac_f64_e32 v[78:79], s[6:7], v[104:105]
	v_add_f64 v[106:107], v[106:107], v[112:113]
	v_fmac_f64_e32 v[70:71], s[8:9], v[104:105]
	v_fmac_f64_e32 v[90:91], v[148:149], v[120:121]
	;; [unrolled: 1-line block ×4, first 2 shown]
	v_add_f64 v[106:107], v[96:97], v[102:103]
	v_add_f64 v[96:97], v[98:99], -v[96:97]
	v_add_f64 v[98:99], v[100:101], -v[102:103]
	v_mul_f64 v[88:89], v[146:147], v[118:119]
	v_fmac_f64_e32 v[18:19], -0.5, v[106:107]
	v_add_f64 v[96:97], v[96:97], v[98:99]
	v_add_f64 v[98:99], v[90:91], v[92:93]
	v_fmac_f64_e32 v[88:89], v[144:145], v[116:117]
	v_fma_f64 v[112:113], s[14:15], v[104:105], v[18:19]
	v_fmac_f64_e32 v[18:19], s[2:3], v[104:105]
	v_fma_f64 v[100:101], -0.5, v[98:99], v[4:5]
	v_add_f64 v[98:99], v[80:81], -v[86:87]
	v_fmac_f64_e32 v[112:113], s[6:7], v[108:109]
	v_fmac_f64_e32 v[18:19], s[8:9], v[108:109]
	v_fma_f64 v[104:105], s[14:15], v[98:99], v[100:101]
	v_add_f64 v[102:103], v[82:83], -v[84:85]
	v_add_f64 v[106:107], v[88:89], -v[90:91]
	;; [unrolled: 1-line block ×3, first 2 shown]
	v_fmac_f64_e32 v[100:101], s[2:3], v[98:99]
	v_fmac_f64_e32 v[104:105], s[8:9], v[102:103]
	v_add_f64 v[106:107], v[106:107], v[108:109]
	v_fmac_f64_e32 v[100:101], s[6:7], v[102:103]
	v_fmac_f64_e32 v[104:105], s[4:5], v[106:107]
	;; [unrolled: 1-line block ×3, first 2 shown]
	v_add_f64 v[106:107], v[88:89], v[94:95]
	v_fmac_f64_e32 v[112:113], s[4:5], v[96:97]
	v_fmac_f64_e32 v[18:19], s[4:5], v[96:97]
	v_add_f64 v[96:97], v[4:5], v[88:89]
	v_fmac_f64_e32 v[4:5], -0.5, v[106:107]
	v_add_f64 v[96:97], v[96:97], v[90:91]
	v_fma_f64 v[114:115], s[2:3], v[102:103], v[4:5]
	v_add_f64 v[106:107], v[90:91], -v[88:89]
	v_add_f64 v[108:109], v[92:93], -v[94:95]
	v_fmac_f64_e32 v[4:5], s[14:15], v[102:103]
	v_add_f64 v[102:103], v[82:83], v[84:85]
	v_add_f64 v[96:97], v[96:97], v[92:93]
	v_fmac_f64_e32 v[114:115], s[8:9], v[98:99]
	v_add_f64 v[106:107], v[106:107], v[108:109]
	v_fmac_f64_e32 v[4:5], s[6:7], v[98:99]
	v_fma_f64 v[102:103], -0.5, v[102:103], v[6:7]
	v_add_f64 v[88:89], v[88:89], -v[94:95]
	v_add_f64 v[96:97], v[96:97], v[94:95]
	v_fmac_f64_e32 v[114:115], s[4:5], v[106:107]
	v_fmac_f64_e32 v[4:5], s[4:5], v[106:107]
	v_fma_f64 v[106:107], s[2:3], v[88:89], v[102:103]
	v_add_f64 v[90:91], v[90:91], -v[92:93]
	v_add_f64 v[92:93], v[80:81], -v[82:83]
	;; [unrolled: 1-line block ×3, first 2 shown]
	v_fmac_f64_e32 v[102:103], s[14:15], v[88:89]
	v_fmac_f64_e32 v[106:107], s[6:7], v[90:91]
	v_add_f64 v[92:93], v[92:93], v[94:95]
	v_fmac_f64_e32 v[102:103], s[8:9], v[90:91]
	v_fmac_f64_e32 v[106:107], s[4:5], v[92:93]
	;; [unrolled: 1-line block ×3, first 2 shown]
	v_add_f64 v[92:93], v[80:81], v[86:87]
	v_add_f64 v[98:99], v[6:7], v[80:81]
	v_fmac_f64_e32 v[6:7], -0.5, v[92:93]
	v_add_f64 v[98:99], v[98:99], v[82:83]
	v_fma_f64 v[116:117], s[14:15], v[90:91], v[6:7]
	v_add_f64 v[80:81], v[82:83], -v[80:81]
	v_add_f64 v[82:83], v[84:85], -v[86:87]
	v_fmac_f64_e32 v[6:7], s[2:3], v[90:91]
	v_add_f64 v[80:81], v[80:81], v[82:83]
	v_fmac_f64_e32 v[6:7], s[8:9], v[88:89]
	v_add_f64 v[98:99], v[98:99], v[84:85]
	v_fmac_f64_e32 v[116:117], s[6:7], v[88:89]
	v_fmac_f64_e32 v[6:7], s[4:5], v[80:81]
	v_add_f64 v[98:99], v[98:99], v[86:87]
	v_fmac_f64_e32 v[116:117], s[4:5], v[80:81]
	ds_write_b128 v243, v[24:27]
	ds_write_b128 v243, v[28:31] offset:10000
	ds_write_b128 v243, v[32:35] offset:20000
	;; [unrolled: 1-line block ×24, first 2 shown]
	s_waitcnt lgkmcnt(0)
	s_barrier
	ds_read_b128 v[0:3], v243
	buffer_load_dword v6, off, s[24:27], 0 offset:40 ; 4-byte Folded Reload
	buffer_load_dword v7, off, s[24:27], 0 offset:44 ; 4-byte Folded Reload
	;; [unrolled: 1-line block ×4, first 2 shown]
	s_mov_b32 s2, 0x88e368f1
	s_mov_b32 s3, 0x3f34f8b5
	s_waitcnt vmcnt(0) lgkmcnt(0)
	v_mul_f64 v[4:5], v[8:9], v[2:3]
	v_fmac_f64_e32 v[4:5], v[6:7], v[0:1]
	v_mul_f64 v[0:1], v[8:9], v[0:1]
	v_fma_f64 v[0:1], v[6:7], v[2:3], -v[0:1]
	buffer_load_dword v3, off, s[24:27], 0  ; 4-byte Folded Reload
	v_mul_f64 v[6:7], v[0:1], s[2:3]
	v_mov_b32_e32 v8, s13
	v_mul_f64 v[4:5], v[4:5], s[2:3]
	s_waitcnt vmcnt(0)
	v_mad_u64_u32 v[0:1], s[4:5], s0, v3, 0
	v_mov_b32_e32 v2, v1
	v_mad_u64_u32 v[2:3], s[4:5], s1, v3, v[2:3]
	v_mov_b32_e32 v1, v2
	v_accvgpr_read_b32 v2, a52
	v_accvgpr_read_b32 v3, a53
	v_lshlrev_b64 v[2:3], 4, v[2:3]
	v_add_co_u32_e32 v2, vcc, s12, v2
	v_addc_co_u32_e32 v3, vcc, v8, v3, vcc
	v_lshlrev_b64 v[0:1], 4, v[0:1]
	v_add_co_u32_e32 v8, vcc, v2, v0
	v_addc_co_u32_e32 v9, vcc, v3, v1, vcc
	global_store_dwordx4 v[8:9], v[4:7], off
	ds_read_b128 v[0:3], v243 offset:10000
	buffer_load_dword v10, off, s[24:27], 0 offset:96 ; 4-byte Folded Reload
	buffer_load_dword v11, off, s[24:27], 0 offset:100 ; 4-byte Folded Reload
	;; [unrolled: 1-line block ×4, first 2 shown]
	v_mad_u64_u32 v[8:9], s[4:5], s0, v242, v[8:9]
	s_mul_i32 s4, s1, 0x2710
	v_add_u32_e32 v9, s4, v9
	s_mul_i32 s1, s1, 0xffff6b90
	s_sub_i32 s1, s1, s0
	s_waitcnt vmcnt(0) lgkmcnt(0)
	v_mul_f64 v[4:5], v[12:13], v[2:3]
	v_fmac_f64_e32 v[4:5], v[10:11], v[0:1]
	v_mul_f64 v[0:1], v[12:13], v[0:1]
	v_fma_f64 v[0:1], v[10:11], v[2:3], -v[0:1]
	v_mul_f64 v[4:5], v[4:5], s[2:3]
	v_mul_f64 v[6:7], v[0:1], s[2:3]
	global_store_dwordx4 v[8:9], v[4:7], off
	ds_read_b128 v[0:3], v243 offset:20000
	buffer_load_dword v10, off, s[24:27], 0 offset:128 ; 4-byte Folded Reload
	buffer_load_dword v11, off, s[24:27], 0 offset:132 ; 4-byte Folded Reload
	buffer_load_dword v12, off, s[24:27], 0 offset:136 ; 4-byte Folded Reload
	buffer_load_dword v13, off, s[24:27], 0 offset:140 ; 4-byte Folded Reload
	v_mad_u64_u32 v[8:9], s[6:7], s0, v242, v[8:9]
	v_add_u32_e32 v9, s4, v9
	s_waitcnt vmcnt(0) lgkmcnt(0)
	v_mul_f64 v[4:5], v[12:13], v[2:3]
	v_fmac_f64_e32 v[4:5], v[10:11], v[0:1]
	v_mul_f64 v[0:1], v[12:13], v[0:1]
	v_fma_f64 v[0:1], v[10:11], v[2:3], -v[0:1]
	v_mul_f64 v[4:5], v[4:5], s[2:3]
	v_mul_f64 v[6:7], v[0:1], s[2:3]
	global_store_dwordx4 v[8:9], v[4:7], off
	ds_read_b128 v[0:3], v243 offset:30000
	buffer_load_dword v10, off, s[24:27], 0 offset:164 ; 4-byte Folded Reload
	buffer_load_dword v11, off, s[24:27], 0 offset:168 ; 4-byte Folded Reload
	buffer_load_dword v12, off, s[24:27], 0 offset:172 ; 4-byte Folded Reload
	buffer_load_dword v13, off, s[24:27], 0 offset:176 ; 4-byte Folded Reload
	v_mad_u64_u32 v[8:9], s[6:7], s0, v242, v[8:9]
	v_add_u32_e32 v9, s4, v9
	;; [unrolled: 15-line block ×3, first 2 shown]
	s_waitcnt vmcnt(0) lgkmcnt(0)
	v_mul_f64 v[4:5], v[12:13], v[2:3]
	v_fmac_f64_e32 v[4:5], v[10:11], v[0:1]
	v_mul_f64 v[0:1], v[12:13], v[0:1]
	v_fma_f64 v[0:1], v[10:11], v[2:3], -v[0:1]
	v_mul_f64 v[4:5], v[4:5], s[2:3]
	v_mul_f64 v[6:7], v[0:1], s[2:3]
	global_store_dwordx4 v[8:9], v[4:7], off
	ds_read_b128 v[0:3], v243 offset:2000
	buffer_load_dword v10, off, s[24:27], 0 offset:24 ; 4-byte Folded Reload
	buffer_load_dword v11, off, s[24:27], 0 offset:28 ; 4-byte Folded Reload
	;; [unrolled: 1-line block ×4, first 2 shown]
	s_waitcnt vmcnt(0) lgkmcnt(0)
	v_mul_f64 v[4:5], v[12:13], v[2:3]
	v_fmac_f64_e32 v[4:5], v[10:11], v[0:1]
	v_mul_f64 v[0:1], v[12:13], v[0:1]
	v_fma_f64 v[0:1], v[10:11], v[2:3], -v[0:1]
	v_mov_b32_e32 v10, 0xffff6b90
	v_mad_u64_u32 v[8:9], s[6:7], s0, v10, v[8:9]
	v_mul_f64 v[4:5], v[4:5], s[2:3]
	v_mul_f64 v[6:7], v[0:1], s[2:3]
	v_add_u32_e32 v9, s1, v9
	global_store_dwordx4 v[8:9], v[4:7], off
	ds_read_b128 v[0:3], v243 offset:12000
	buffer_load_dword v12, off, s[24:27], 0 offset:80 ; 4-byte Folded Reload
	buffer_load_dword v13, off, s[24:27], 0 offset:84 ; 4-byte Folded Reload
	buffer_load_dword v14, off, s[24:27], 0 offset:88 ; 4-byte Folded Reload
	buffer_load_dword v15, off, s[24:27], 0 offset:92 ; 4-byte Folded Reload
	v_mad_u64_u32 v[8:9], s[6:7], s0, v242, v[8:9]
	v_add_u32_e32 v9, s4, v9
	s_waitcnt vmcnt(0) lgkmcnt(0)
	v_mul_f64 v[4:5], v[14:15], v[2:3]
	v_fmac_f64_e32 v[4:5], v[12:13], v[0:1]
	v_mul_f64 v[0:1], v[14:15], v[0:1]
	v_fma_f64 v[0:1], v[12:13], v[2:3], -v[0:1]
	v_mul_f64 v[4:5], v[4:5], s[2:3]
	v_mul_f64 v[6:7], v[0:1], s[2:3]
	global_store_dwordx4 v[8:9], v[4:7], off
	ds_read_b128 v[0:3], v243 offset:22000
	buffer_load_dword v12, off, s[24:27], 0 offset:112 ; 4-byte Folded Reload
	buffer_load_dword v13, off, s[24:27], 0 offset:116 ; 4-byte Folded Reload
	buffer_load_dword v14, off, s[24:27], 0 offset:120 ; 4-byte Folded Reload
	buffer_load_dword v15, off, s[24:27], 0 offset:124 ; 4-byte Folded Reload
	v_mad_u64_u32 v[8:9], s[6:7], s0, v242, v[8:9]
	v_add_u32_e32 v9, s4, v9
	s_waitcnt vmcnt(0) lgkmcnt(0)
	v_mul_f64 v[4:5], v[14:15], v[2:3]
	v_fmac_f64_e32 v[4:5], v[12:13], v[0:1]
	v_mul_f64 v[0:1], v[14:15], v[0:1]
	v_fma_f64 v[0:1], v[12:13], v[2:3], -v[0:1]
	v_mul_f64 v[4:5], v[4:5], s[2:3]
	v_mul_f64 v[6:7], v[0:1], s[2:3]
	;; [unrolled: 15-line block ×3, first 2 shown]
	global_store_dwordx4 v[8:9], v[4:7], off
	ds_read_b128 v[0:3], v243 offset:42000
	buffer_load_dword v12, off, s[24:27], 0 offset:180 ; 4-byte Folded Reload
	buffer_load_dword v13, off, s[24:27], 0 offset:184 ; 4-byte Folded Reload
	;; [unrolled: 1-line block ×4, first 2 shown]
	v_mad_u64_u32 v[8:9], s[6:7], s0, v242, v[8:9]
	v_add_u32_e32 v9, s4, v9
	s_waitcnt vmcnt(0) lgkmcnt(0)
	v_mul_f64 v[4:5], v[14:15], v[2:3]
	v_fmac_f64_e32 v[4:5], v[12:13], v[0:1]
	v_mul_f64 v[0:1], v[14:15], v[0:1]
	v_fma_f64 v[0:1], v[12:13], v[2:3], -v[0:1]
	v_mul_f64 v[6:7], v[0:1], s[2:3]
	ds_read_b128 v[0:3], v243 offset:4000
	v_accvgpr_read_b32 v12, a54
	v_mul_f64 v[4:5], v[4:5], s[2:3]
	v_accvgpr_read_b32 v14, a56
	v_accvgpr_read_b32 v15, a57
	global_store_dwordx4 v[8:9], v[4:7], off
	v_accvgpr_read_b32 v13, a55
	s_waitcnt lgkmcnt(0)
	v_mul_f64 v[4:5], v[14:15], v[2:3]
	v_fmac_f64_e32 v[4:5], v[12:13], v[0:1]
	v_mul_f64 v[0:1], v[14:15], v[0:1]
	v_fma_f64 v[0:1], v[12:13], v[2:3], -v[0:1]
	v_mul_f64 v[6:7], v[0:1], s[2:3]
	ds_read_b128 v[0:3], v243 offset:14000
	v_mad_u64_u32 v[8:9], s[6:7], s0, v10, v[8:9]
	v_accvgpr_read_b32 v12, a66
	v_mul_f64 v[4:5], v[4:5], s[2:3]
	v_add_u32_e32 v9, s1, v9
	v_accvgpr_read_b32 v14, a68
	v_accvgpr_read_b32 v15, a69
	global_store_dwordx4 v[8:9], v[4:7], off
	v_accvgpr_read_b32 v13, a67
	s_waitcnt lgkmcnt(0)
	v_mul_f64 v[4:5], v[14:15], v[2:3]
	v_fmac_f64_e32 v[4:5], v[12:13], v[0:1]
	v_mul_f64 v[0:1], v[14:15], v[0:1]
	v_fma_f64 v[0:1], v[12:13], v[2:3], -v[0:1]
	v_mul_f64 v[6:7], v[0:1], s[2:3]
	ds_read_b128 v[0:3], v243 offset:24000
	v_mad_u64_u32 v[8:9], s[6:7], s0, v242, v[8:9]
	v_accvgpr_read_b32 v12, a58
	v_mul_f64 v[4:5], v[4:5], s[2:3]
	v_add_u32_e32 v9, s4, v9
	;; [unrolled: 15-line block ×5, first 2 shown]
	v_accvgpr_read_b32 v14, a84
	v_accvgpr_read_b32 v15, a85
	global_store_dwordx4 v[8:9], v[4:7], off
	v_accvgpr_read_b32 v13, a83
	s_waitcnt lgkmcnt(0)
	v_mul_f64 v[4:5], v[14:15], v[2:3]
	v_fmac_f64_e32 v[4:5], v[12:13], v[0:1]
	v_mul_f64 v[0:1], v[14:15], v[0:1]
	v_fma_f64 v[0:1], v[12:13], v[2:3], -v[0:1]
	v_mul_f64 v[6:7], v[0:1], s[2:3]
	ds_read_b128 v[0:3], v243 offset:16000
	v_mov_b32_e32 v10, 0xffff6b90
	v_mad_u64_u32 v[8:9], s[6:7], s0, v10, v[8:9]
	v_accvgpr_read_b32 v12, a74
	v_mul_f64 v[4:5], v[4:5], s[2:3]
	v_add_u32_e32 v9, s1, v9
	v_accvgpr_read_b32 v14, a76
	v_accvgpr_read_b32 v15, a77
	global_store_dwordx4 v[8:9], v[4:7], off
	v_accvgpr_read_b32 v13, a75
	s_waitcnt lgkmcnt(0)
	v_mul_f64 v[4:5], v[14:15], v[2:3]
	v_fmac_f64_e32 v[4:5], v[12:13], v[0:1]
	v_mul_f64 v[0:1], v[14:15], v[0:1]
	v_fma_f64 v[0:1], v[12:13], v[2:3], -v[0:1]
	v_mul_f64 v[6:7], v[0:1], s[2:3]
	ds_read_b128 v[0:3], v243 offset:26000
	v_mad_u64_u32 v[8:9], s[6:7], s0, v242, v[8:9]
	v_accvgpr_read_b32 v12, a86
	v_mul_f64 v[4:5], v[4:5], s[2:3]
	v_add_u32_e32 v9, s4, v9
	v_accvgpr_read_b32 v14, a88
	v_accvgpr_read_b32 v15, a89
	global_store_dwordx4 v[8:9], v[4:7], off
	v_accvgpr_read_b32 v13, a87
	s_waitcnt lgkmcnt(0)
	v_mul_f64 v[4:5], v[14:15], v[2:3]
	v_fmac_f64_e32 v[4:5], v[12:13], v[0:1]
	v_mul_f64 v[0:1], v[14:15], v[0:1]
	v_fma_f64 v[0:1], v[12:13], v[2:3], -v[0:1]
	v_mul_f64 v[6:7], v[0:1], s[2:3]
	ds_read_b128 v[0:3], v243 offset:36000
	v_mad_u64_u32 v[8:9], s[6:7], s0, v242, v[8:9]
	v_accvgpr_read_b32 v12, a78
	v_mul_f64 v[4:5], v[4:5], s[2:3]
	v_add_u32_e32 v9, s4, v9
	v_accvgpr_read_b32 v14, a80
	v_accvgpr_read_b32 v15, a81
	global_store_dwordx4 v[8:9], v[4:7], off
	v_accvgpr_read_b32 v13, a79
	s_waitcnt lgkmcnt(0)
	v_mul_f64 v[4:5], v[14:15], v[2:3]
	v_fmac_f64_e32 v[4:5], v[12:13], v[0:1]
	v_mul_f64 v[0:1], v[14:15], v[0:1]
	v_fma_f64 v[0:1], v[12:13], v[2:3], -v[0:1]
	v_mul_f64 v[6:7], v[0:1], s[2:3]
	ds_read_b128 v[0:3], v243 offset:46000
	v_mad_u64_u32 v[8:9], s[6:7], s0, v242, v[8:9]
	v_accvgpr_read_b32 v12, a90
	v_mul_f64 v[4:5], v[4:5], s[2:3]
	v_add_u32_e32 v9, s4, v9
	v_accvgpr_read_b32 v14, a92
	v_accvgpr_read_b32 v15, a93
	global_store_dwordx4 v[8:9], v[4:7], off
	v_accvgpr_read_b32 v13, a91
	s_waitcnt lgkmcnt(0)
	v_mul_f64 v[4:5], v[14:15], v[2:3]
	v_fmac_f64_e32 v[4:5], v[12:13], v[0:1]
	v_mul_f64 v[0:1], v[14:15], v[0:1]
	v_fma_f64 v[0:1], v[12:13], v[2:3], -v[0:1]
	v_mul_f64 v[6:7], v[0:1], s[2:3]
	v_mad_u64_u32 v[0:1], s[6:7], s0, v242, v[8:9]
	v_mul_f64 v[4:5], v[4:5], s[2:3]
	v_add_u32_e32 v1, s4, v1
	global_store_dwordx4 v[0:1], v[4:7], off
	ds_read_b128 v[2:5], v243 offset:8000
	buffer_load_dword v12, off, s[24:27], 0 offset:8 ; 4-byte Folded Reload
	buffer_load_dword v13, off, s[24:27], 0 offset:12 ; 4-byte Folded Reload
	buffer_load_dword v14, off, s[24:27], 0 offset:16 ; 4-byte Folded Reload
	buffer_load_dword v15, off, s[24:27], 0 offset:20 ; 4-byte Folded Reload
	v_mad_u64_u32 v[10:11], s[6:7], s0, v10, v[0:1]
	v_add_u32_e32 v11, s1, v11
	s_waitcnt vmcnt(0) lgkmcnt(0)
	v_mul_f64 v[6:7], v[14:15], v[4:5]
	v_fmac_f64_e32 v[6:7], v[12:13], v[2:3]
	v_mul_f64 v[2:3], v[14:15], v[2:3]
	v_fma_f64 v[2:3], v[12:13], v[4:5], -v[2:3]
	v_mul_f64 v[8:9], v[2:3], s[2:3]
	ds_read_b128 v[0:3], v243 offset:18000
	v_mul_f64 v[6:7], v[6:7], s[2:3]
	global_store_dwordx4 v[10:11], v[6:9], off
	s_nop 0
	v_accvgpr_read_b32 v6, a94
	v_accvgpr_read_b32 v8, a96
	;; [unrolled: 1-line block ×4, first 2 shown]
	s_waitcnt lgkmcnt(0)
	v_mul_f64 v[4:5], v[8:9], v[2:3]
	v_fmac_f64_e32 v[4:5], v[6:7], v[0:1]
	v_mul_f64 v[0:1], v[8:9], v[0:1]
	v_fma_f64 v[0:1], v[6:7], v[2:3], -v[0:1]
	v_mad_u64_u32 v[8:9], s[6:7], s0, v242, v[10:11]
	v_mul_f64 v[4:5], v[4:5], s[2:3]
	v_mul_f64 v[6:7], v[0:1], s[2:3]
	v_add_u32_e32 v9, s4, v9
	global_store_dwordx4 v[8:9], v[4:7], off
	ds_read_b128 v[0:3], v243 offset:28000
	buffer_load_dword v10, off, s[24:27], 0 offset:196 ; 4-byte Folded Reload
	buffer_load_dword v11, off, s[24:27], 0 offset:200 ; 4-byte Folded Reload
	;; [unrolled: 1-line block ×4, first 2 shown]
	v_mad_u64_u32 v[8:9], s[6:7], s0, v242, v[8:9]
	v_add_u32_e32 v9, s4, v9
	s_waitcnt vmcnt(0) lgkmcnt(0)
	v_mul_f64 v[4:5], v[12:13], v[2:3]
	v_fmac_f64_e32 v[4:5], v[10:11], v[0:1]
	v_mul_f64 v[0:1], v[12:13], v[0:1]
	v_fma_f64 v[0:1], v[10:11], v[2:3], -v[0:1]
	v_mul_f64 v[4:5], v[4:5], s[2:3]
	v_mul_f64 v[6:7], v[0:1], s[2:3]
	global_store_dwordx4 v[8:9], v[4:7], off
	ds_read_b128 v[0:3], v243 offset:38000
	buffer_load_dword v10, off, s[24:27], 0 offset:228 ; 4-byte Folded Reload
	buffer_load_dword v11, off, s[24:27], 0 offset:232 ; 4-byte Folded Reload
	;; [unrolled: 1-line block ×4, first 2 shown]
	v_mad_u64_u32 v[8:9], s[6:7], s0, v242, v[8:9]
	v_add_u32_e32 v9, s4, v9
	s_waitcnt vmcnt(0) lgkmcnt(0)
	v_mul_f64 v[4:5], v[12:13], v[2:3]
	v_fmac_f64_e32 v[4:5], v[10:11], v[0:1]
	v_mul_f64 v[0:1], v[12:13], v[0:1]
	v_fma_f64 v[0:1], v[10:11], v[2:3], -v[0:1]
	v_mul_f64 v[6:7], v[0:1], s[2:3]
	ds_read_b128 v[0:3], v243 offset:48000
	v_accvgpr_read_b32 v10, a98
	v_mul_f64 v[4:5], v[4:5], s[2:3]
	v_accvgpr_read_b32 v12, a100
	v_accvgpr_read_b32 v13, a101
	global_store_dwordx4 v[8:9], v[4:7], off
	v_accvgpr_read_b32 v11, a99
	s_waitcnt lgkmcnt(0)
	v_mul_f64 v[4:5], v[12:13], v[2:3]
	v_fmac_f64_e32 v[4:5], v[10:11], v[0:1]
	v_mul_f64 v[0:1], v[12:13], v[0:1]
	v_fma_f64 v[0:1], v[10:11], v[2:3], -v[0:1]
	v_mul_f64 v[6:7], v[0:1], s[2:3]
	v_mad_u64_u32 v[0:1], s[0:1], s0, v242, v[8:9]
	v_mul_f64 v[4:5], v[4:5], s[2:3]
	v_add_u32_e32 v1, s4, v1
	global_store_dwordx4 v[0:1], v[4:7], off
.LBB0_2:
	s_endpgm
	.section	.rodata,"a",@progbits
	.p2align	6, 0x0
	.amdhsa_kernel bluestein_single_fwd_len3125_dim1_dp_op_CI_CI
		.amdhsa_group_segment_fixed_size 50000
		.amdhsa_private_segment_fixed_size 248
		.amdhsa_kernarg_size 104
		.amdhsa_user_sgpr_count 6
		.amdhsa_user_sgpr_private_segment_buffer 1
		.amdhsa_user_sgpr_dispatch_ptr 0
		.amdhsa_user_sgpr_queue_ptr 0
		.amdhsa_user_sgpr_kernarg_segment_ptr 1
		.amdhsa_user_sgpr_dispatch_id 0
		.amdhsa_user_sgpr_flat_scratch_init 0
		.amdhsa_user_sgpr_kernarg_preload_length 0
		.amdhsa_user_sgpr_kernarg_preload_offset 0
		.amdhsa_user_sgpr_private_segment_size 0
		.amdhsa_uses_dynamic_stack 0
		.amdhsa_system_sgpr_private_segment_wavefront_offset 1
		.amdhsa_system_sgpr_workgroup_id_x 1
		.amdhsa_system_sgpr_workgroup_id_y 0
		.amdhsa_system_sgpr_workgroup_id_z 0
		.amdhsa_system_sgpr_workgroup_info 0
		.amdhsa_system_vgpr_workitem_id 0
		.amdhsa_next_free_vgpr 512
		.amdhsa_next_free_sgpr 28
		.amdhsa_accum_offset 256
		.amdhsa_reserve_vcc 1
		.amdhsa_reserve_flat_scratch 0
		.amdhsa_float_round_mode_32 0
		.amdhsa_float_round_mode_16_64 0
		.amdhsa_float_denorm_mode_32 3
		.amdhsa_float_denorm_mode_16_64 3
		.amdhsa_dx10_clamp 1
		.amdhsa_ieee_mode 1
		.amdhsa_fp16_overflow 0
		.amdhsa_tg_split 0
		.amdhsa_exception_fp_ieee_invalid_op 0
		.amdhsa_exception_fp_denorm_src 0
		.amdhsa_exception_fp_ieee_div_zero 0
		.amdhsa_exception_fp_ieee_overflow 0
		.amdhsa_exception_fp_ieee_underflow 0
		.amdhsa_exception_fp_ieee_inexact 0
		.amdhsa_exception_int_div_zero 0
	.end_amdhsa_kernel
	.text
.Lfunc_end0:
	.size	bluestein_single_fwd_len3125_dim1_dp_op_CI_CI, .Lfunc_end0-bluestein_single_fwd_len3125_dim1_dp_op_CI_CI
                                        ; -- End function
	.section	.AMDGPU.csdata,"",@progbits
; Kernel info:
; codeLenInByte = 39800
; NumSgprs: 32
; NumVgprs: 256
; NumAgprs: 256
; TotalNumVgprs: 512
; ScratchSize: 248
; MemoryBound: 0
; FloatMode: 240
; IeeeMode: 1
; LDSByteSize: 50000 bytes/workgroup (compile time only)
; SGPRBlocks: 3
; VGPRBlocks: 63
; NumSGPRsForWavesPerEU: 32
; NumVGPRsForWavesPerEU: 512
; AccumOffset: 256
; Occupancy: 1
; WaveLimiterHint : 1
; COMPUTE_PGM_RSRC2:SCRATCH_EN: 1
; COMPUTE_PGM_RSRC2:USER_SGPR: 6
; COMPUTE_PGM_RSRC2:TRAP_HANDLER: 0
; COMPUTE_PGM_RSRC2:TGID_X_EN: 1
; COMPUTE_PGM_RSRC2:TGID_Y_EN: 0
; COMPUTE_PGM_RSRC2:TGID_Z_EN: 0
; COMPUTE_PGM_RSRC2:TIDIG_COMP_CNT: 0
; COMPUTE_PGM_RSRC3_GFX90A:ACCUM_OFFSET: 63
; COMPUTE_PGM_RSRC3_GFX90A:TG_SPLIT: 0
	.text
	.p2alignl 6, 3212836864
	.fill 256, 4, 3212836864
	.type	__hip_cuid_caa3b929970706a7,@object ; @__hip_cuid_caa3b929970706a7
	.section	.bss,"aw",@nobits
	.globl	__hip_cuid_caa3b929970706a7
__hip_cuid_caa3b929970706a7:
	.byte	0                               ; 0x0
	.size	__hip_cuid_caa3b929970706a7, 1

	.ident	"AMD clang version 19.0.0git (https://github.com/RadeonOpenCompute/llvm-project roc-6.4.0 25133 c7fe45cf4b819c5991fe208aaa96edf142730f1d)"
	.section	".note.GNU-stack","",@progbits
	.addrsig
	.addrsig_sym __hip_cuid_caa3b929970706a7
	.amdgpu_metadata
---
amdhsa.kernels:
  - .agpr_count:     256
    .args:
      - .actual_access:  read_only
        .address_space:  global
        .offset:         0
        .size:           8
        .value_kind:     global_buffer
      - .actual_access:  read_only
        .address_space:  global
        .offset:         8
        .size:           8
        .value_kind:     global_buffer
      - .actual_access:  read_only
        .address_space:  global
        .offset:         16
        .size:           8
        .value_kind:     global_buffer
      - .actual_access:  read_only
        .address_space:  global
        .offset:         24
        .size:           8
        .value_kind:     global_buffer
      - .actual_access:  read_only
        .address_space:  global
        .offset:         32
        .size:           8
        .value_kind:     global_buffer
      - .offset:         40
        .size:           8
        .value_kind:     by_value
      - .address_space:  global
        .offset:         48
        .size:           8
        .value_kind:     global_buffer
      - .address_space:  global
        .offset:         56
        .size:           8
        .value_kind:     global_buffer
      - .address_space:  global
        .offset:         64
        .size:           8
        .value_kind:     global_buffer
      - .address_space:  global
        .offset:         72
        .size:           8
        .value_kind:     global_buffer
      - .offset:         80
        .size:           4
        .value_kind:     by_value
      - .address_space:  global
        .offset:         88
        .size:           8
        .value_kind:     global_buffer
      - .address_space:  global
        .offset:         96
        .size:           8
        .value_kind:     global_buffer
    .group_segment_fixed_size: 50000
    .kernarg_segment_align: 8
    .kernarg_segment_size: 104
    .language:       OpenCL C
    .language_version:
      - 2
      - 0
    .max_flat_workgroup_size: 125
    .name:           bluestein_single_fwd_len3125_dim1_dp_op_CI_CI
    .private_segment_fixed_size: 248
    .sgpr_count:     32
    .sgpr_spill_count: 0
    .symbol:         bluestein_single_fwd_len3125_dim1_dp_op_CI_CI.kd
    .uniform_work_group_size: 1
    .uses_dynamic_stack: false
    .vgpr_count:     512
    .vgpr_spill_count: 61
    .wavefront_size: 64
amdhsa.target:   amdgcn-amd-amdhsa--gfx90a
amdhsa.version:
  - 1
  - 2
...

	.end_amdgpu_metadata
